;; amdgpu-corpus repo=ROCm/Tensile kind=harvested arch=n/a opt=n/a

/******************************************/
/* Function Prefix                        */
/******************************************/



/******************************************/
/* Begin Kernel                           */
/******************************************/

// Component.Signature.SignatureDefault
.amdgcn_target "amdgcn-amd-amdhsa--gfx90a"
.text
.protected Cijk_Alik_Bljk_BBS_BH_GB_MT256x64x64_MI32x32x4x1_SE_1LDSB1_APM1_AF0EM8_AF1EM1_AMAS0_ASGT_ASLT_ASAE01_ASCE01_ASEM1_BL1_BS1_CLR0_DTLA0_DTLB0_DTVA0_DVO0_EPS1_FL0_GLVWA2_GLVWB2_GRVW2_GSU1_GSUASB_GLS0_ISA90a_IU1_K1_KLA_LBSPPA128_LBSPPB128_LPA4_LPB4_LDL1_LRVW4_LDW0_FMA_MIAV0_MMFGLC_NTA0_NTB0_NTC0_NTD0_NEPBS0_NLCA1_NLCB1_ONLL1_OPLV0_PK0_PAP0_PGR1_PLR17_SIA3_SS0_SU0_SUM0_SUS0_SCIUI1_SPO0_SRVW4_SSO0_SVW4_SNLL0_TT4_32_TLDS1_UMLDSA1_UMLDSB1_USFGROn1_VAW1_VSn1_VW1_VWB1_VFLRP0_WSGRA1_WSGRB1_WG64_4_1_WGM15
.globl Cijk_Alik_Bljk_BBS_BH_GB_MT256x64x64_MI32x32x4x1_SE_1LDSB1_APM1_AF0EM8_AF1EM1_AMAS0_ASGT_ASLT_ASAE01_ASCE01_ASEM1_BL1_BS1_CLR0_DTLA0_DTLB0_DTVA0_DVO0_EPS1_FL0_GLVWA2_GLVWB2_GRVW2_GSU1_GSUASB_GLS0_ISA90a_IU1_K1_KLA_LBSPPA128_LBSPPB128_LPA4_LPB4_LDL1_LRVW4_LDW0_FMA_MIAV0_MMFGLC_NTA0_NTB0_NTC0_NTD0_NEPBS0_NLCA1_NLCB1_ONLL1_OPLV0_PK0_PAP0_PGR1_PLR17_SIA3_SS0_SU0_SUM0_SUS0_SCIUI1_SPO0_SRVW4_SSO0_SVW4_SNLL0_TT4_32_TLDS1_UMLDSA1_UMLDSB1_USFGROn1_VAW1_VSn1_VW1_VWB1_VFLRP0_WSGRA1_WSGRB1_WG64_4_1_WGM15
.p2align 8
.type Cijk_Alik_Bljk_BBS_BH_GB_MT256x64x64_MI32x32x4x1_SE_1LDSB1_APM1_AF0EM8_AF1EM1_AMAS0_ASGT_ASLT_ASAE01_ASCE01_ASEM1_BL1_BS1_CLR0_DTLA0_DTLB0_DTVA0_DVO0_EPS1_FL0_GLVWA2_GLVWB2_GRVW2_GSU1_GSUASB_GLS0_ISA90a_IU1_K1_KLA_LBSPPA128_LBSPPB128_LPA4_LPB4_LDL1_LRVW4_LDW0_FMA_MIAV0_MMFGLC_NTA0_NTB0_NTC0_NTD0_NEPBS0_NLCA1_NLCB1_ONLL1_OPLV0_PK0_PAP0_PGR1_PLR17_SIA3_SS0_SU0_SUM0_SUS0_SCIUI1_SPO0_SRVW4_SSO0_SVW4_SNLL0_TT4_32_TLDS1_UMLDSA1_UMLDSB1_USFGROn1_VAW1_VSn1_VW1_VWB1_VFLRP0_WSGRA1_WSGRB1_WG64_4_1_WGM15,@function
.section .rodata,#alloc
.p2align 6
.amdhsa_kernel Cijk_Alik_Bljk_BBS_BH_GB_MT256x64x64_MI32x32x4x1_SE_1LDSB1_APM1_AF0EM8_AF1EM1_AMAS0_ASGT_ASLT_ASAE01_ASCE01_ASEM1_BL1_BS1_CLR0_DTLA0_DTLB0_DTVA0_DVO0_EPS1_FL0_GLVWA2_GLVWB2_GRVW2_GSU1_GSUASB_GLS0_ISA90a_IU1_K1_KLA_LBSPPA128_LBSPPB128_LPA4_LPB4_LDL1_LRVW4_LDW0_FMA_MIAV0_MMFGLC_NTA0_NTB0_NTC0_NTD0_NEPBS0_NLCA1_NLCB1_ONLL1_OPLV0_PK0_PAP0_PGR1_PLR17_SIA3_SS0_SU0_SUM0_SUS0_SCIUI1_SPO0_SRVW4_SSO0_SVW4_SNLL0_TT4_32_TLDS1_UMLDSA1_UMLDSB1_USFGROn1_VAW1_VSn1_VW1_VWB1_VFLRP0_WSGRA1_WSGRB1_WG64_4_1_WGM15
  .amdhsa_user_sgpr_kernarg_segment_ptr 1
  .amdhsa_user_sgpr_kernarg_preload_offset 0
  .amdhsa_user_sgpr_kernarg_preload_length 0
  .amdhsa_user_sgpr_count 2
  .amdhsa_accum_offset 256 // accvgpr offset
  .amdhsa_next_free_vgpr 320 // vgprs
  .amdhsa_next_free_sgpr 68 // sgprs
  .amdhsa_group_segment_fixed_size 43520 // lds bytes
  .amdhsa_private_segment_fixed_size 0
  .amdhsa_system_sgpr_workgroup_id_x 1
  .amdhsa_system_sgpr_workgroup_id_y 1
  .amdhsa_system_sgpr_workgroup_id_z 1
  .amdhsa_system_vgpr_workitem_id 0
  .amdhsa_float_denorm_mode_32 3
  .amdhsa_float_denorm_mode_16_64 3
.end_amdhsa_kernel
.text

/******************************************/
/* Optimizations and Config:              */
/******************************************/
/* ThreadTile= 64 x 1 */
/* SubGroup= 4 x 64 */
/* VectorWidthA=1 */
/* VectorWidthB=1 */
/* GlobalLoadVectorWidthA=2, GlobalLoadVectorWidthB=2 */
/* DirectToLdsA=False */
/* DirectToLdsB=False */
/* UseSgprForGRO=0 */
.amdgpu_metadata
---
amdhsa.version:
  - 1
  - 1
amdhsa.target: amdgcn-amd-amdhsa--gfx90a
amdhsa.kernels:
  - .name: Cijk_Alik_Bljk_BBS_BH_GB_MT256x64x64_MI32x32x4x1_SE_1LDSB1_APM1_AF0EM8_AF1EM1_AMAS0_ASGT_ASLT_ASAE01_ASCE01_ASEM1_BL1_BS1_CLR0_DTLA0_DTLB0_DTVA0_DVO0_EPS1_FL0_GLVWA2_GLVWB2_GRVW2_GSU1_GSUASB_GLS0_ISA90a_IU1_K1_KLA_LBSPPA128_LBSPPB128_LPA4_LPB4_LDL1_LRVW4_LDW0_FMA_MIAV0_MMFGLC_NTA0_NTB0_NTC0_NTD0_NEPBS0_NLCA1_NLCB1_ONLL1_OPLV0_PK0_PAP0_PGR1_PLR17_SIA3_SS0_SU0_SUM0_SUS0_SCIUI1_SPO0_SRVW4_SSO0_SVW4_SNLL0_TT4_32_TLDS1_UMLDSA1_UMLDSB1_USFGROn1_VAW1_VSn1_VW1_VWB1_VFLRP0_WSGRA1_WSGRB1_WG64_4_1_WGM15
    .symbol: 'Cijk_Alik_Bljk_BBS_BH_GB_MT256x64x64_MI32x32x4x1_SE_1LDSB1_APM1_AF0EM8_AF1EM1_AMAS0_ASGT_ASLT_ASAE01_ASCE01_ASEM1_BL1_BS1_CLR0_DTLA0_DTLB0_DTVA0_DVO0_EPS1_FL0_GLVWA2_GLVWB2_GRVW2_GSU1_GSUASB_GLS0_ISA90a_IU1_K1_KLA_LBSPPA128_LBSPPB128_LPA4_LPB4_LDL1_LRVW4_LDW0_FMA_MIAV0_MMFGLC_NTA0_NTB0_NTC0_NTD0_NEPBS0_NLCA1_NLCB1_ONLL1_OPLV0_PK0_PAP0_PGR1_PLR17_SIA3_SS0_SU0_SUM0_SUS0_SCIUI1_SPO0_SRVW4_SSO0_SVW4_SNLL0_TT4_32_TLDS1_UMLDSA1_UMLDSB1_USFGROn1_VAW1_VSn1_VW1_VWB1_VFLRP0_WSGRA1_WSGRB1_WG64_4_1_WGM15.kd'
    .language:                   OpenCL C
    .language_version:
      - 2
      - 0
    .args:
      - .name:            Tensor2dSizeA
        .size:            8
        .offset:          0
        .value_kind:      by_value
        .value_type:      u64
      - .name:            Tensor2dSizeB
        .size:            8
        .offset:          8
        .value_kind:      by_value
        .value_type:      u64
      - .name:            AddressD
        .size:            8
        .offset:          16
        .value_kind:      by_value
        .value_type:      u64
      - .name:            AddressC
        .size:            8
        .offset:          24
        .value_kind:      by_value
        .value_type:      u64
      - .name:            AddressA
        .size:            8
        .offset:          32
        .value_kind:      by_value
        .value_type:      u64
      - .name:            AddressB
        .size:            8
        .offset:          40
        .value_kind:      by_value
        .value_type:      u64
      - .name:            OffsetD
        .size:            8
        .offset:          48
        .value_kind:      by_value
        .value_type:      u64
      - .name:            OffsetC
        .size:            8
        .offset:          56
        .value_kind:      by_value
        .value_type:      u64
      - .name:            OffsetA
        .size:            8
        .offset:          64
        .value_kind:      by_value
        .value_type:      u64
      - .name:            OffsetB
        .size:            8
        .offset:          72
        .value_kind:      by_value
        .value_type:      u64
      - .name:            Alpha
        .size:            4
        .offset:          80
        .value_kind:      by_value
        .value_type:      u32
      - .name:            Beta
        .size:            4
        .offset:          84
        .value_kind:      by_value
        .value_type:      u32
      - .name:            StridesD
        .size:            8
        .offset:          88
        .value_kind:      by_value
        .value_type:      u64
      - .name:            StridesC
        .size:            8
        .offset:          96
        .value_kind:      by_value
        .value_type:      u64
      - .name:            StridesA
        .size:            8
        .offset:          104
        .value_kind:      by_value
        .value_type:      u64
      - .name:            StridesB
        .size:            8
        .offset:          112
        .value_kind:      by_value
        .value_type:      u64
      - .name:            SizesFree
        .size:            12
        .offset:          120
        .value_kind:      by_value
        .value_type:      u96
      - .name:            SizesSum
        .size:            4
        .offset:          132
        .value_kind:      by_value
        .value_type:      u32
      - .name:            NumWorkGroups0
        .size:            4
        .offset:          136
        .value_kind:      by_value
        .value_type:      u32
      - .name:            NumWorkGroups1
        .size:            4
        .offset:          140
        .value_kind:      by_value
        .value_type:      u32
      - .name:            NumFullBlocks
        .size:            4
        .offset:          144
        .value_kind:      by_value
        .value_type:      u32
      - .name:            WgmRemainder1
        .size:            4
        .offset:          148
        .value_kind:      by_value
        .value_type:      u32
      - .name:            MagicNumberWgmRemainder1
        .size:            4
        .offset:          152
        .value_kind:      by_value
        .value_type:      u32
    .group_segment_fixed_size:   43520
    .kernarg_segment_align:      8
    .kernarg_segment_size:       160
    .max_flat_workgroup_size:    256
    .private_segment_fixed_size: 0
    .sgpr_count:                 68
    .sgpr_spill_count:           0
    .vgpr_count:                 256
    .vgpr_spill_count:           0
    .wavefront_size:             64
...
.end_amdgpu_metadata
Cijk_Alik_Bljk_BBS_BH_GB_MT256x64x64_MI32x32x4x1_SE_1LDSB1_APM1_AF0EM8_AF1EM1_AMAS0_ASGT_ASLT_ASAE01_ASCE01_ASEM1_BL1_BS1_CLR0_DTLA0_DTLB0_DTVA0_DVO0_EPS1_FL0_GLVWA2_GLVWB2_GRVW2_GSU1_GSUASB_GLS0_ISA90a_IU1_K1_KLA_LBSPPA128_LBSPPB128_LPA4_LPB4_LDL1_LRVW4_LDW0_FMA_MIAV0_MMFGLC_NTA0_NTB0_NTC0_NTD0_NEPBS0_NLCA1_NLCB1_ONLL1_OPLV0_PK0_PAP0_PGR1_PLR17_SIA3_SS0_SU0_SUM0_SUS0_SCIUI1_SPO0_SRVW4_SSO0_SVW4_SNLL0_TT4_32_TLDS1_UMLDSA1_UMLDSB1_USFGROn1_VAW1_VSn1_VW1_VWB1_VFLRP0_WSGRA1_WSGRB1_WG64_4_1_WGM15:

/******************************************/
/* Asm syntax workarounds                 */
/******************************************/
.macro _v_add_co_u32 dst:req, cc:req, src0:req, src1:req, dpp=
   v_add_co_u32 \dst, \cc, \src0, \src1 \dpp
.endm

.macro _v_add_u32 dst:req, src0:req, src1:req, dpp=
   v_add_u32 \dst, \src0, \src1 \dpp
.endm

.macro _v_add_i32 dst:req, src0:req, src1:req, dpp=
   v_add_i32 \dst, \src0, \src1 \dpp
.endm

.macro _v_addc_co_u32 dst:req, ccOut:req, src0:req, ccIn:req, src1:req, dpp=
   v_addc_co_u32 \dst, \ccOut, \src0, \ccIn, \src1 \dpp
.endm

.macro _v_sub_co_u32 dst:req, cc:req, src0:req, src1:req, dpp=
   v_sub_co_u32 \dst, \cc, \src0, \src1 \dpp
.endm

.macro _v_sub_u32 dst:req, src0:req, src1:req, dpp=
   v_sub_u32 \dst, \src0, \src1 \dpp
.endm

.macro _v_sub_i32 dst:req, src0:req, src1:req, dpp=
   v_sub_i32 \dst, \src0, \src1 \dpp
.endm

.macro _v_add_lshl_u32 dst:req, src0:req, src1:req, shiftCnt:req
    v_add_lshl_u32 \dst, \src0, \src1, \shiftCnt
.endm

.macro _v_lshl_add_u32 dst:req, src0:req, src1:req, shiftCnt:req
    v_lshl_add_u32 \dst, \src0, \src1, \shiftCnt
.endm

.macro _v_lshl_or_b32 dst:req, src0:req, shiftCnt:req, src1:req
    v_lshl_or_b32 \dst, \src0, \shiftCnt, \src1
.endm

.macro _v_dot2acc_f32_f16 dst, src0, src1
v_dot2c_f32_f16 \dst, \src0, \src1
.endm

.macro _v_cmpx_lt_i16 dst, src0, src1=
   v_cmpx_lt_i16 \dst, \src0, \src1 
.endm

.macro _v_cmpx_lt_i32 dst, src0, src1=
   v_cmpx_lt_i32 \dst, \src0, \src1 
.endm

.macro _v_cmpx_lt_i64 dst, src0, src1=
   v_cmpx_lt_i64 \dst, \src0, \src1 
.endm

.macro _v_cmpx_lt_u16 dst, src0, src1=
   v_cmpx_lt_u16 \dst, \src0, \src1 
.endm

.macro _v_cmpx_lt_u32 dst, src0, src1=
   v_cmpx_lt_u32 \dst, \src0, \src1 
.endm

.macro _v_cmpx_lt_u64 dst, src0, src1=
   v_cmpx_lt_u64 \dst, \src0, \src1 
.endm

.macro _v_cmpx_eq_i16 dst, src0, src1=
   v_cmpx_eq_i16 \dst, \src0, \src1 
.endm

.macro _v_cmpx_eq_i32 dst, src0, src1=
   v_cmpx_eq_i32 \dst, \src0, \src1 
.endm

.macro _v_cmpx_eq_i64 dst, src0, src1=
   v_cmpx_eq_i64 \dst, \src0, \src1 
.endm

.macro _v_cmpx_eq_u16 dst, src0, src1=
   v_cmpx_eq_u16 \dst, \src0, \src1 
.endm

.macro _v_cmpx_eq_u32 dst, src0, src1=
   v_cmpx_eq_u32 \dst, \src0, \src1 
.endm

.macro _v_cmpx_eq_u64 dst, src0, src1=
   v_cmpx_eq_u64 \dst, \src0, \src1 
.endm

.macro _v_cmpx_le_i16 dst, src0, src1=
   v_cmpx_le_i16 \dst, \src0, \src1 
.endm

.macro _v_cmpx_le_i32 dst, src0, src1=
   v_cmpx_le_i32 \dst, \src0, \src1 
.endm

.macro _v_cmpx_le_i64 dst, src0, src1=
   v_cmpx_le_i64 \dst, \src0, \src1 
.endm

.macro _v_cmpx_le_u16 dst, src0, src1=
   v_cmpx_le_u16 \dst, \src0, \src1 
.endm

.macro _v_cmpx_le_u32 dst, src0, src1=
   v_cmpx_le_u32 \dst, \src0, \src1 
.endm

.macro _v_cmpx_le_u64 dst, src0, src1=
   v_cmpx_le_u64 \dst, \src0, \src1 
.endm

.macro _v_cmpx_gt_i16 dst, src0, src1=
   v_cmpx_gt_i16 \dst, \src0, \src1 
.endm

.macro _v_cmpx_gt_i32 dst, src0, src1=
   v_cmpx_gt_i32 \dst, \src0, \src1 
.endm

.macro _v_cmpx_gt_i64 dst, src0, src1=
   v_cmpx_gt_i64 \dst, \src0, \src1 
.endm

.macro _v_cmpx_gt_u16 dst, src0, src1=
   v_cmpx_gt_u16 \dst, \src0, \src1 
.endm

.macro _v_cmpx_gt_u32 dst, src0, src1=
   v_cmpx_gt_u32 \dst, \src0, \src1 
.endm

.macro _v_cmpx_gt_u64 dst, src0, src1=
   v_cmpx_gt_u64 \dst, \src0, \src1 
.endm

.macro _v_cmpx_ne_i16 dst, src0, src1=
   v_cmpx_ne_i16 \dst, \src0, \src1 
.endm

.macro _v_cmpx_ne_i32 dst, src0, src1=
   v_cmpx_ne_i32 \dst, \src0, \src1 
.endm

.macro _v_cmpx_ne_i64 dst, src0, src1=
   v_cmpx_ne_i64 \dst, \src0, \src1 
.endm

.macro _v_cmpx_ne_u16 dst, src0, src1=
   v_cmpx_ne_u16 \dst, \src0, \src1 
.endm

.macro _v_cmpx_ne_u32 dst, src0, src1=
   v_cmpx_ne_u32 \dst, \src0, \src1 
.endm

.macro _v_cmpx_ne_u64 dst, src0, src1=
   v_cmpx_ne_u64 \dst, \src0, \src1 
.endm

.macro _v_cmpx_lg_i16 dst, src0, src1=
   v_cmpx_lg_i16 \dst, \src0, \src1 
.endm

.macro _v_cmpx_lg_i32 dst, src0, src1=
   v_cmpx_lg_i32 \dst, \src0, \src1 
.endm

.macro _v_cmpx_lg_i64 dst, src0, src1=
   v_cmpx_lg_i64 \dst, \src0, \src1 
.endm

.macro _v_cmpx_lg_u16 dst, src0, src1=
   v_cmpx_lg_u16 \dst, \src0, \src1 
.endm

.macro _v_cmpx_lg_u32 dst, src0, src1=
   v_cmpx_lg_u32 \dst, \src0, \src1 
.endm

.macro _v_cmpx_lg_u64 dst, src0, src1=
   v_cmpx_lg_u64 \dst, \src0, \src1 
.endm

.macro _v_cmpx_ge_i16 dst, src0, src1=
   v_cmpx_ge_i16 \dst, \src0, \src1 
.endm

.macro _v_cmpx_ge_i32 dst, src0, src1=
   v_cmpx_ge_i32 \dst, \src0, \src1 
.endm

.macro _v_cmpx_ge_i64 dst, src0, src1=
   v_cmpx_ge_i64 \dst, \src0, \src1 
.endm

.macro _v_cmpx_ge_u16 dst, src0, src1=
   v_cmpx_ge_u16 \dst, \src0, \src1 
.endm

.macro _v_cmpx_ge_u32 dst, src0, src1=
   v_cmpx_ge_u32 \dst, \src0, \src1 
.endm

.macro _v_cmpx_ge_u64 dst, src0, src1=
   v_cmpx_ge_u64 \dst, \src0, \src1 
.endm

.macro _v_cmpx_o_i16 dst, src0, src1=
   v_cmpx_o_i16 \dst, \src0, \src1 
.endm

.macro _v_cmpx_o_i32 dst, src0, src1=
   v_cmpx_o_i32 \dst, \src0, \src1 
.endm

.macro _v_cmpx_o_i64 dst, src0, src1=
   v_cmpx_o_i64 \dst, \src0, \src1 
.endm

.macro _v_cmpx_o_u16 dst, src0, src1=
   v_cmpx_o_u16 \dst, \src0, \src1 
.endm

.macro _v_cmpx_o_u32 dst, src0, src1=
   v_cmpx_o_u32 \dst, \src0, \src1 
.endm

.macro _v_cmpx_o_u64 dst, src0, src1=
   v_cmpx_o_u64 \dst, \src0, \src1 
.endm

.macro _v_cmpx_u_i16 dst, src0, src1=
   v_cmpx_u_i16 \dst, \src0, \src1 
.endm

.macro _v_cmpx_u_i32 dst, src0, src1=
   v_cmpx_u_i32 \dst, \src0, \src1 
.endm

.macro _v_cmpx_u_i64 dst, src0, src1=
   v_cmpx_u_i64 \dst, \src0, \src1 
.endm

.macro _v_cmpx_u_u16 dst, src0, src1=
   v_cmpx_u_u16 \dst, \src0, \src1 
.endm

.macro _v_cmpx_u_u32 dst, src0, src1=
   v_cmpx_u_u32 \dst, \src0, \src1 
.endm

.macro _v_cmpx_u_u64 dst, src0, src1=
   v_cmpx_u_u64 \dst, \src0, \src1 
.endm
.macro _v_mac_f32 c:req, a:req, b:req
    v_fmac_f32 \c, \a, \b
.endmacro

/* scale global load macros */
.macro _s_load_b32 dst base offset
    s_load_dword \dst \base \offset
.endm

.macro _s_load_b64 dst base offset
    s_load_dwordx2 \dst \base \offset
.endm

.macro _s_load_b128 dst base offset
    s_load_dwordx4 \dst \base \offset
.endm

.macro _s_load_b256 dst base offset
    s_load_dwordx8 \dst \base \offset
.endm

.macro _s_load_b512 dst base offset
    s_load_dwordx16 \dst \base \offset
.endm


/* ds operation macros */
.macro _ds_load_u8 dst src offset
    ds_read_u8 \dst \src \offset
.endm

.macro _ds_load_u8_d16_hi dst src offset
    ds_read_u8_d16_hi \dst \src \offset
.endm

.macro _ds_load_u16 dst src offset
    ds_read_u16 \dst \src \offset
.endm

.macro _ds_load_u16_d16_hi dst src offset
    ds_read_u16_d16_hi \dst \src \offset
.endm

.macro _ds_load_b32 dst src offset
    ds_read_b32 \dst \src \offset
.endm

.macro _ds_load_b64 dst src offset
    ds_read_b64 \dst \src \offset
.endm

.macro _ds_load_b128 dst src offset
    ds_read_b128 \dst \src \offset
.endm

.macro _ds_store_b8 dst src offset
    ds_write_b8 \dst \src \offset
.endm

.macro _ds_store_b8_d16_hi dst src offset
    ds_write_b8_d16_hi \dst \src \offset
.endm

.macro _ds_store_b16 dst src offset
    ds_write_b16 \dst \src \offset
.endm

.macro _ds_store_b16_d16_hi dst src offset
    ds_write_b16_d16_hi \dst \src \offset
.endm

.macro _ds_store_b32 dst src offset
    ds_write_b32 \dst \src \offset
.endm

.macro _ds_store_b64 dst src offset
    ds_write_b64 \dst \src \offset
.endm

.macro _ds_store_b128 dst src offset
    ds_write_b128 \dst \src \offset
.endm

.macro _ds_load2_b32 dst src offset1 offset2
    ds_read2_b32 \dst \src \offset1 \offset2
.endm

.macro _ds_load2_b64 dst src offset1 offset2
    ds_read2_b64 \dst \src \offset1 \offset2
.endm

.macro _ds_store2_b32 dst src offset1 offset2
    ds_write2_b32 \dst \src \offset1 \offset2
.endm

.macro _ds_store2_b64 dst src offset1 offset2
    ds_write2_b64 \dst \src \offset1 \offset2
.endm


/* buffer memory operation macros */
.macro _buffer_load_b32 dst voffset base soffset offen ioffset md0 md1 md2
    buffer_load_dword \dst \voffset \base \soffset \offen \ioffset \md0 \md1 \md2
.endm

.macro _buffer_load_b64 dst voffset base soffset offen ioffset md0 md1 md2
    buffer_load_dwordx2 \dst \voffset \base \soffset \offen \ioffset \md0 \md1 \md2
.endm

.macro _buffer_load_b96 dst voffset base soffset offen ioffset md0 md1 md2
    buffer_load_dwordx3 \dst \voffset \base \soffset \offen \ioffset \md0 \md1 \md2
.endm

.macro _buffer_load_b128 dst voffset base soffset offen ioffset md0 md1 md2
    buffer_load_dwordx4 \dst \voffset \base \soffset \offen \ioffset \md0 \md1 \md2
.endm

.macro _buffer_load_d16_b16 dst voffset base soffset offen ioffset md0 md1 md2
    buffer_load_short_d16 \dst \voffset \base \soffset \offen \ioffset \md0 \md1 \md2
.endm

.macro _buffer_load_d16_hi_b16 dst voffset base soffset offen ioffset md0 md1 md2
    buffer_load_short_d16_hi \dst \voffset \base \soffset \offen \ioffset \md0 \md1 \md2
.endm

.macro _buffer_load_d16_u8 dst voffset base soffset offen ioffset md0 md1 md2
    buffer_load_ubyte_d16 \dst \voffset \base \soffset \offen \ioffset \md0 \md1 \md2
.endm

.macro _buffer_load_d16_hi_u8 dst voffset base soffset offen ioffset md0 md1 md2
    buffer_load_ubyte_d16_hi \dst \voffset \base \soffset \offen \ioffset \md0 \md1 \md2
.endm

.macro _buffer_load_u16 dst voffset base soffset offen ioffset md0 md1 md2
    buffer_load_ushort \dst \voffset \base \soffset \offen \ioffset \md0 \md1 \md2
.endm

.macro _buffer_load_b32_dtl voffset base soffset offen ioffset md0 md1 md2
    buffer_load_dword \voffset \base \soffset \offen \ioffset \md0 \md1 \md2
.endm

.macro _buffer_load_b64_dtl voffset base soffset offen ioffset md0 md1 md2
    buffer_load_dwordx2 \voffset \base \soffset \offen \ioffset \md0 \md1 \md2
.endm

.macro _buffer_load_b128_dtl voffset base soffset offen ioffset md0 md1 md2
    buffer_load_dwordx4 \voffset \base \soffset \offen \ioffset \md0 \md1 \md2
.endm

.macro _buffer_load_u16_dtl voffset base soffset offen ioffset md0 md1 md2
    buffer_load_ushort \voffset \base \soffset \offen \ioffset \md0 \md1 \md2
.endm

.macro _buffer_store_b32 src voffset base soffset offen ioffset md0 md1 md2
    buffer_store_dword \src \voffset \base \soffset \offen \ioffset \md0 \md1 \md2
.endm

.macro _buffer_store_b64 src voffset base soffset offen ioffset md0 md1 md2
    buffer_store_dwordx2 \src \voffset \base \soffset \offen \ioffset \md0 \md1 \md2
.endm

.macro _buffer_store_b96 src voffset base soffset offen ioffset md0 md1 md2
    buffer_store_dwordx3 \src \voffset \base \soffset \offen \ioffset \md0 \md1 \md2
.endm

.macro _buffer_store_b128 src voffset base soffset offen ioffset md0 md1 md2
    buffer_store_dwordx4 \src \voffset \base \soffset \offen \ioffset \md0 \md1 \md2
.endm

.macro _buffer_store_b16 src voffset base soffset offen ioffset md0 md1 md2
    buffer_store_short \src \voffset \base \soffset \offen \ioffset \md0 \md1 \md2
.endm

.macro _buffer_store_d16_hi_b16 src voffset base soffset offen ioffset md0 md1 md2
    buffer_store_short_d16_hi \src \voffset \base \soffset \offen \ioffset \md0 \md1 \md2
.endm

.macro _buffer_store_b8 src voffset base soffset offen ioffset md0 md1 md2
    buffer_store_byte \src \voffset \base \soffset \offen \ioffset \md0 \md1 \md2
.endm

.macro _buffer_store_d16_hi_b8 src voffset base soffset offen ioffset md0 md1 md2
    buffer_store_byte_d16_hi \src \voffset \base \soffset \offen \ioffset \md0 \md1 \md2
.endm

.macro _buffer_atomic_cmpswap_b32 dst voffset base soffset offen ioffset md0 md1 md2
    buffer_atomic_cmpswap \dst \voffset \base \soffset \offen \ioffset \md0 \md1 \md2
.endm

.macro _buffer_atomic_cmpswap_b64 dst voffset base soffset offen ioffset md0 md1 md2
    buffer_atomic_cmpswap_x2 \dst \voffset \base \soffset \offen \ioffset \md0 \md1 \md2
.endm


/* buffer memory operation macros */
.macro _global_load_b32 dst base src ioffset md0 md1 md2
    global_load_dword \dst \base \src \ioffset \md0 \md1 \md2
.endm

.macro _global_load_b64 dst base src ioffset md0 md1 md2
    global_load_dwordx2 \dst \base \src \ioffset \md0 \md1 \md2
.endm

.macro _global_load_b96 dst base src ioffset md0 md1 md2
    global_load_dwordx3 \dst \base \src \ioffset \md0 \md1 \md2
.endm

.macro _global_load_b128 dst base src ioffset md0 md1 md2
    global_load_dwordx4 \dst \base \src \ioffset \md0 \md1 \md2
.endm

.macro _global_load_d16_b16 dst base src ioffset md0 md1 md2
    global_load_short_d16 \dst \base \src \ioffset \md0 \md1 \md2
.endm

.macro _global_load_d16_hi_b16 dst base src ioffset md0 md1 md2
    global_load_short_d16_hi \dst \base \src \ioffset \md0 \md1 \md2
.endm

.macro _global_load_d16_u8 dst base src ioffset md0 md1 md2
    global_load_ubyte_d16 \dst \base \src \ioffset \md0 \md1 \md2
.endm

.macro _global_load_d16_hi_u8 dst base src ioffset md0 md1 md2
    global_load_ubyte_d16_hi \dst \base \src \ioffset \md0 \md1 \md2
.endm

.macro _global_load_u16 dst base src ioffset md0 md1 md2
    global_load_ushort \dst \base \src \ioffset \md0 \md1 \md2
.endm

.macro _global_store_b32 base src src2 md0 md1 md2
    global_store_dword \base \src \src2 \md0 \md1 \md2
.endm

.macro _global_store_b64 base src src2 md0 md1 md2
    global_store_dwordx2 \base \src \src2 \md0 \md1 \md2
.endm

.macro _global_store_b96 base src src2 md0 md1 md2
    global_store_dwordx3 \base \src \src2 \md0 \md1 \md2
.endm

.macro _global_store_b128 base src src2 md0 md1 md2
    global_store_dwordx4 \base \src \src2 \md0 \md1 \md2
.endm

.macro _global_store_d16_b16 base src src2 md0 md1 md2
    global_store_short \base \src \src2 \md0 \md1 \md2
.endm

.macro _global_store_d16_hi_b16 base src src2 md0 md1 md2
    global_store_short_d16_hi \base \src \src2 \md0 \md1 \md2
.endm

.macro _global_store_d16_u8 base src src2 md0 md1 md2
    global_store_ubyte_d16 \base \src \src2 \md0 \md1 \md2
.endm

.macro _global_store_d16_hi_u8 base src src2 md0 md1 md2
    global_store_ubyte_d16_hi \base \src \src2 \md0 \md1 \md2
.endm

.macro _global_store_u16 base src src2 md0 md1 md2
    global_store_ushort \base \src \src2 \md0 \md1 \md2
.endm

.macro _global_atomic_cmpswap_b32 tmp base data src ioffset md
    global_atomic_cmpswap \tmp \base \data \src \ioffset \md
.endm

.macro _global_atomic_cmpswap_b64 tmp base data src ioffset md
    global_atomic_cmpswap_x2 \tmp \base \data \src \ioffset \md
.endm


/******************************************/
/* Magic div and mod functions            */
/******************************************/
.macro V_MAGIC_DIV dstIdx:req, dividend:req, magicNumber:req, magicShift:req, magicA:req
    v_mul_hi_u32 v[\dstIdx+1], \dividend, \magicNumber
    v_mul_lo_u32 v[\dstIdx+0], \dividend, \magicA
    _v_add_u32 v[\dstIdx+0], v[\dstIdx+0], v[\dstIdx+1]
    v_lshrrev_b32 v[\dstIdx+0], \magicShift, v[\dstIdx+0]
.endm

/******************************************/
/* VGPR Assignments                       */
/******************************************/
/* ValuC range: [0-0), serializedStore enabled */
.set vgprValuC, 0
/* ValuA/B   Xn=PLR buffer idx,  In=InnerUnroll idx */
.set vgprValuA_X0_I0, 0
.set vgprValuA_X1_I0, 4
.set vgprValuA_X2_I0, 8
.set vgprValuA_X3_I0, 12
.set vgprValuA_X4_I0, 16
.set vgprValuA_X5_I0, 20
.set vgprValuA_X6_I0, 24
.set vgprValuA_X7_I0, 28
.set vgprValuA_X8_I0, 32
.set vgprValuA_X9_I0, 36
.set vgprValuA_X10_I0, 40
.set vgprValuA_X11_I0, 44
.set vgprValuA_X12_I0, 48
.set vgprValuA_X13_I0, 52
.set vgprValuA_X14_I0, 56
.set vgprValuA_X15_I0, 60
.set vgprG2LA, 122
.set vgprValuB_X0_I0, 64
.set vgprValuB_X1_I0, 65
.set vgprValuB_X2_I0, 66
.set vgprValuB_X3_I0, 67
.set vgprValuB_X4_I0, 68
.set vgprValuB_X5_I0, 69
.set vgprValuB_X6_I0, 70
.set vgprValuB_X7_I0, 71
.set vgprValuB_X8_I0, 72
.set vgprValuB_X9_I0, 73
.set vgprValuB_X10_I0, 74
.set vgprValuB_X11_I0, 75
.set vgprValuB_X12_I0, 76
.set vgprValuB_X13_I0, 77
.set vgprValuB_X14_I0, 78
.set vgprValuB_X15_I0, 79
.set vgprG2LB, 154
.set vgprLocalWriteAddrA, 80
.set vgprLocalWriteAddrB, 81
.set vgprGlobalReadOffsetA, 82
.set vgprGlobalReadOffsetB, 114
.set vgprLocalReadAddrA, 162
.set vgprLocalReadAddrB, 163
.set vgprSerial, 164
/* Num VGPR=256 */
/* Num AccVGPR=64 */

/******************************************/
/* SGPR Assignments                       */
/******************************************/
.set sgprKernArgAddress, 0 // (2)
.set sgprWorkGroup0, 2 // (1)
.set sgprWorkGroup1, 3 // (1)
.set sgprWorkGroup2, 4 // (1)
.set sgprLoopCounterL, 5 // (1)
.set sgprOrigLoopCounter, 6 // (1)
.set sgprSrdA, 8 // (4)
.set sgprSrdB, 12 // (4)
.set sgprSrdD, 16 // (4)
.set sgprSrdC, 20 // (4)
.set sgprTensor2dSizeA, 24 // (2)
.set sgprTensor2dSizeB, 26 // (2)
.set sgprAddressD, 28 // (2)
.set sgprAddressC, 30 // (2)
.set sgprAddressA, 32 // (2)
.set sgprAddressB, 34 // (2)
.set sgprOffsetD, 36 // (2)
.set sgprOffsetC, 38 // (2)
.set sgprOffsetA, 40 // (2)
.set sgprOffsetB, 42 // (2)
.set sgprAlpha, 44 // (1)
.set sgprBeta, 45 // (1)
.set sgprStridesD, 46 // (2)
.set sgprStridesC, 48 // (2)
.set sgprStridesA, 50 // (2)
.set sgprStridesB, 52 // (2)
.set sgprSizesFree, 54 // (3)
.set sgprSizesSum, 57 // (1)
.set sgprNumWorkGroups0, 58 // (1)
.set sgprNumWorkGroups1, 59 // (1)
.set sgprNumFullBlocks, 60 // (1)
.set sgprWgmRemainder1, 61 // (1)
.set sgprMagicNumberWgmRemainder1, 62 // (1)
.set sgprShadowLimitA, 28 // (2)
.set sgprShadowLimitB, 30 // (2)
.set sgprGlobalReadIncsA, 7 // (1)
.set sgprGlobalReadIncsB, 32 // (1)
/* max SGPR=68 */

/* Size Assignments */
.set sgprSizeI, sgprSizesFree+0
.set sgprSizeJ, sgprSizesFree+1
.set sgprSizeK, sgprSizesFree+2
.set sgprSizeL, sgprSizesSum+0

/* Stride Assignments */
.set constStrideD0I, 1
.set sgprStrideD1J, sgprStridesD+0
.set sgprStrideDK, sgprStridesD+1
.set constStrideC0I, 1
.set sgprStrideC1J, sgprStridesC+0
.set sgprStrideCK, sgprStridesC+1
.set constStrideAL, 1
.set sgprStrideA0I, sgprStridesA+0
.set sgprStrideAK, sgprStridesA+1
.set constStrideBL, 1
.set sgprStrideB1J, sgprStridesB+0
.set sgprStrideBK, sgprStridesB+1

.set MT0, 256
.set MT1, 64
.set DepthU, 64
.set GSU, 1
.set BpeA, 2
.set BpeALog2, 1
.set BpeB, 2
.set BpeBLog2, 1
/* Number of elements to shift-left SRD */
.set SrdShiftLeftA, 2
.set SrdShiftLeftB, 2
/* 2GB limit - set offsets to -1 to exceed this and clamp */
.set BufferLimitA, 0xffffffff
.set BufferLimitB, 0xffffffff
.set BufferOOB, 0xfffff000

/******************************************/
/* Bits 127:96 of SRD.                    */
/* hex: 0x00020000                        */
/* dst_sel_x (3b): 0                      */
/* dst_sel_y (3b): 0                      */
/* dst_sel_z (3b): 0                      */
/* dst_sel_w (3b): 0                      */
/* num_format (3b): 0                     */
/* data_format (4b): 4                    */
/* user_vm_enable (1b): 0                 */
/* user_vm_mode (1b): 0                   */
/* index_stride (2b): 0                   */
/* add_tid_enable (1b): 0                 */
/* _unusedA (3b): 0                       */
/* nv (1b): 0                             */
/* _unusedB (2b): 0                       */
/* type (2b): 0                           */
/******************************************/
.set Srd127_96, 0x00020000

/* Global Offset A */
.macro GLOBAL_OFFSET_A vgprAddr:req vgprOffsetL:req vgprOffset0I:req vgprTmp:req
v_mul_lo_u32 v[\vgprTmp+0], s[sgprStrideA0I], v[\vgprOffset0I] // mul d1 lower
_v_add_co_u32 v[\vgprAddr+0], vcc, v[\vgprOffsetL], v[\vgprTmp+0] // accumulate K lower
_v_add_u32 v[\vgprAddr+0], 0x2, v[\vgprAddr+0]     // add prepad for pointer shift
v_lshlrev_b32 v[\vgprAddr+0], 0x1, v[\vgprAddr+0]  // offset *= bytes/element
.endm

/* Global Offset B */
.macro GLOBAL_OFFSET_B vgprAddr:req vgprOffsetL:req vgprOffset1J:req vgprTmp:req
v_mul_lo_u32 v[\vgprTmp+0], s[sgprStrideB1J], v[\vgprOffset1J] // mul d1 lower
_v_add_co_u32 v[\vgprAddr+0], vcc, v[\vgprOffsetL], v[\vgprTmp+0] // accumulate K lower
_v_add_u32 v[\vgprAddr+0], 0x2, v[\vgprAddr+0]     // add prepad for pointer shift
v_lshlrev_b32 v[\vgprAddr+0], 0x1, v[\vgprAddr+0]  // offset *= bytes/element
.endm

/******************************************/
/* Dynamic Scalar Divide: vQuotient=vDividend/vDivisor; vRemainder=vDividend%vDivisor; */
/******************************************/
.macro DYNAMIC_VECTOR_DIVIDE vQuotient vRemainder vDividend vDivisor vTmp0 vTmp1 sTmp
v_cvt_f32_u32 v[\vQuotient], v[\vDivisor]          // 
v_rcp_f32 v[\vQuotient], v[\vQuotient]             // 
v_mul_f32 v[\vQuotient], 0x4f800000, v[\vQuotient] // 
v_cvt_u32_f32 v[\vQuotient], v[\vQuotient]         // 
v_mul_lo_u32 v[\vRemainder], v[\vDivisor], v[\vQuotient] // 
v_mul_hi_u32 v[\vTmp0], v[\vDivisor], v[\vQuotient] // 
_v_sub_co_u32 v[\vTmp1], vcc, 0x0, v[\vRemainder]  // 
v_cmp_ne_i32 s[\sTmp:\sTmp+1], 0x0, v[\vTmp0]      // 
v_cndmask_b32 v[\vRemainder], v[\vTmp1], v[\vRemainder], s[\sTmp:\sTmp+1] // 
v_mul_hi_u32 v[\vRemainder], v[\vRemainder], v[\vQuotient] // 
_v_sub_co_u32 v[\vTmp0], vcc, v[\vQuotient], v[\vRemainder] // 
_v_add_co_u32 v[\vQuotient], vcc, v[\vQuotient], v[\vRemainder] // 
v_cndmask_b32 v[\vQuotient], v[\vQuotient], v[\vTmp0], s[\sTmp:\sTmp+1] // 
v_mul_hi_u32 v[\vQuotient], v[\vQuotient], v[\vDividend] // 
v_mul_lo_u32 v[\vRemainder], v[\vQuotient], v[\vDivisor] // 
_v_sub_co_u32 v[\vTmp0], vcc, v[\vDividend], v[\vRemainder] // 
v_cmp_ge_u32 s[\sTmp:\sTmp+1], v[\vDividend], v[\vRemainder] // 
_v_add_co_u32 v[\vRemainder], vcc, 0x1, v[\vQuotient] // 
_v_add_co_u32 v[\vTmp1], vcc, -1, v[\vQuotient]    // 
v_cmp_le_u32 vcc, v[\vDivisor], v[\vTmp0]          // 
s_and_b64 vcc, s[\sTmp:\sTmp+1], vcc               // 
v_cndmask_b32 v[\vQuotient], v[\vQuotient], v[\vRemainder], vcc // 
v_cndmask_b32 v[\vQuotient], v[\vTmp1], v[\vQuotient], s[\sTmp:\sTmp+1] // 
v_cmp_ne_i32 vcc, 0x0, v[\vDivisor]                // 
v_cndmask_b32 v[\vQuotient], -1, v[\vQuotient], vcc // final result
v_mul_lo_u32 v[\vRemainder], v[\vQuotient], v[\vDivisor] // 
_v_sub_co_u32 v[\vRemainder], vcc, v[\vDividend], v[\vRemainder] // final result
.endm


	;; [unrolled: 1-line block ×3, first 2 shown]
/******************************************/
/* Allocate Resources                     */
/******************************************/

Cijk_Alik_Bljk_BBS_BH_GB_MT256x64x64_MI32x32x4x1_SE_1LDSB1_APM1_AF0EM8_AF1EM1_AMAS0_ASGT_ASLT_ASAE01_ASCE01_ASEM1_BL1_BS1_CLR0_DTLA0_DTLB0_DTVA0_DVO0_EPS1_FL0_GLVWA2_GLVWB2_GRVW2_GSU1_GSUASB_GLS0_ISA90a_IU1_K1_KLA_LBSPPA128_LBSPPB128_LPA4_LPB4_LDL1_LRVW4_LDW0_FMA_MIAV0_MMFGLC_NTA0_NTB0_NTC0_NTD0_NEPBS0_NLCA1_NLCB1_ONLL1_OPLV0_PK0_PAP0_PGR1_PLR17_SIA3_SS0_SU0_SUM0_SUS0_SCIUI1_SPO0_SRVW4_SSO0_SVW4_SNLL0_TT4_32_TLDS1_UMLDSA1_UMLDSB1_USFGROn1_VAW1_VSn1_VW1_VWB1_VFLRP0_WSGRA1_WSGRB1_WG64_4_1_WGM15_preloaded: // Kernel start when preloading

/* Load Kernel Args */
_s_load_b512 s[24:39], s[sgprKernArgAddress:sgprKernArgAddress+1], 0x0 // 
_s_load_b512 s[40:55], s[sgprKernArgAddress:sgprKernArgAddress+1], 0x40 // 
_s_load_b128 s[56:59], s[sgprKernArgAddress:sgprKernArgAddress+1], 0x80 // 
_s_load_b64 s[60:61], s[sgprKernArgAddress:sgprKernArgAddress+1], 0x90 // 
_s_load_b32 s62, s[sgprKernArgAddress:sgprKernArgAddress+1], 0x98 // 
s_mov_b32 m0, 0xaa00                               // LDS clamp at 43520 bytes
v_mov_b32 v[vgprSerial], v0                        // thread serial id

/******************************************/
/* Local Read Addresses                   */
/******************************************/


/* local read addresses: tile assignments a/b */

/*lr0I*/
v_and_b32 v1, 63, v[vgprSerial]                    // 0. thread id in wave: wtid = tid % wavelength(64)
v_and_b32 v0, 31, v1                               // 1. N offset: nIdx = wtid % MI_N(32)
v_lshlrev_b32 v0, 0x6, v0                          // 1. N offset: nOffset = nIdx * nStride(64)
                                                   // 2. block offset: bnIdx = bnIdx % num1DBlocks(1) is 0. do nothing
                                                   // 4. apply VectorWidth: bnOffset = bnOffset * vw(1) (multiplier is 1, do nothing)
v_lshrrev_b32 v1, 5, v1                            // 5. K offset: kIdx = wtid / (MIN(32) * MIBB(1))
v_lshlrev_b32 v1, 0x2, v1                          // 5. K offset: lrKOffset = kIdx * mStride(4)
_v_add_u32 v0, v1, v0                              // 6. offset in wave: lrOffset = bnOffset + lrKOffset
v_lshrrev_b32 v2, 6, v[vgprSerial]                 // 7. wave offset in N dimen: wtid = tid / dividedForWaveId(64)
v_and_b32 v1, 1, v2                                // 7. wave offset in M dimen: wtid0 = wtid / num1DWaves(2)
v_lshlrev_b32 v1, 0xb, v1                          // 7. wave offset in M dimen: wOffset = wtid0 * W0Stride(2048)
_v_add_u32 v0, v1, v0                              // 8. final local read offset: flrOffset = lrOffset + WOffset
/*lr1J*/
v_and_b32 v2, 63, v[vgprSerial]                    // 0. thread id in wave: wtid = tid % wavelength(64)
v_and_b32 v1, 31, v2                               // 1. N offset: nIdx = wtid % MI_N(32)
v_lshlrev_b32 v1, 0x6, v1                          // 1. N offset: nOffset = nIdx * nStride(64)
                                                   // 2. block offset: bnIdx = bnIdx % num1DBlocks(1) is 0. do nothing
                                                   // 4. apply VectorWidth: bnOffset = bnOffset * vw(1) (multiplier is 1, do nothing)
v_lshrrev_b32 v2, 5, v2                            // 5. K offset: kIdx = wtid / (MIN(32) * MIBB(1))
v_lshlrev_b32 v2, 0x2, v2                          // 5. K offset: lrKOffset = kIdx * mStride(4)
_v_add_u32 v1, v2, v1                              // 6. offset in wave: lrOffset = bnOffset + lrKOffset
v_lshrrev_b32 v3, 7, v[vgprSerial]                 // 7. wave offset in N dimen: wtid = tid / dividedForWaveId(128)
v_and_b32 v2, 1, v3                                // 7. wave offset in M dimen: wtid0 = wtid / num1DWaves(2)
v_lshlrev_b32 v2, 0xb, v2                          // 7. wave offset in M dimen: wOffset = wtid0 * W0Stride(2048)
_v_add_u32 v1, v2, v1                              // 8. final local read offset: flrOffset = lrOffset + WOffset


/* local read addresses: final offsets a */

v_lshlrev_b32 v[vgprLocalReadAddrA], 0x1, v0       // Final Offset: offset = (lro0)*bpe
v_lshrrev_b32 v0, 7, v[vgprLocalReadAddrA]         // Final Offset: padding 4 per block 128
v_lshlrev_b32 v0, 0x3, v0                          // Final Offset: padding 4 per block 128
_v_add_u32 v[vgprLocalReadAddrA], v0, v[vgprLocalReadAddrA] // Final Offset: add padding 4 per block 128


/* local read addresses: final offsets b */

v_lshlrev_b32 v[vgprLocalReadAddrB], 0x1, v1       // Final Offset: offset = (lro1)*bpe
v_lshrrev_b32 v0, 7, v[vgprLocalReadAddrB]         // Final Offset: padding 4 per block 128
v_lshlrev_b32 v0, 0x3, v0                          // Final Offset: padding 4 per block 128
_v_add_u32 v[vgprLocalReadAddrB], v0, v[vgprLocalReadAddrB] // Final Offset: add padding 4 per block 128


/* local read addresses: declare addresses a */

/* N/A */


/* local read addresses: declare addresses b */

_v_add_co_u32 v[vgprLocalReadAddrB+0], vcc, 0x8800, v[vgprLocalReadAddrB+0] //  += LdsOffsetB (lower)


/* global read addresses: tile offset assignment a */

/* LVCA = 32 */
/* v0 = (local)groA-tile = serial/LVCA (note (wgA*MTA) will be added to SRD) */
/* v1 = groA-unroll = serial%LVCA */
v_and_b32 v2, 63, v[vgprSerial]                    // v2 = v[vgprSerial] % 64
v_lshrrev_b32 v0, 5, v2                            // v0 = v2 / 32
v_and_b32 v1, 31, v2                               // v1 = v2 % 32
v_readfirstlane_b32 s64, v[vgprSerial]             // WaveIdxWavefrontWidth
s_lshr_b32 s64, s64, 0x6                           // WaveId
s_mul_i32 s64, s64, 64                             // Global Read Wave: each wave loads continuous lsp(2)*nrp(32) columns
_v_add_u32 v0, s64, v0                             // Global Read Wave: add back to column index
/* gro-unroll *= glvw */
v_lshlrev_b32 v1, 0x1, v1                          // v1 = v1 * 2


/* global read addresses: tile offset assignment b */

/* LVCB = 32 */
/* v2 = (local)groB-tile = serial/LVCB (note (wgB*MTB) will be added to SRD) */
/* v3 = groB-unroll = serial%LVCB */
v_and_b32 v4, 63, v[vgprSerial]                    // v4 = v[vgprSerial] % 64
v_lshrrev_b32 v2, 5, v4                            // v2 = v4 / 32
v_and_b32 v3, 31, v4                               // v3 = v4 % 32
v_readfirstlane_b32 s64, v[vgprSerial]             // WaveIdxWavefrontWidth
s_lshr_b32 s64, s64, 0x6                           // WaveId
s_mul_i32 s64, s64, 16                             // Global Read Wave: each wave loads continuous lsp(2)*nrp(8) columns
_v_add_u32 v2, s64, v2                             // Global Read Wave: add back to column index
/* gro-unroll *= glvw */
v_lshlrev_b32 v3, 0x1, v3                          // v3 = v3 * 2


/******************************************/
/* Local Write Addresses                  */
/******************************************/

/* lwaTileAssignmentA = v0 */

/* lwaTileAssignmentB = v2 */

/* lwaUnrollAssignmentA = v1 */

/* lwaUnrollAssignmentB = v3 */


/* local write addresses: first offset a */

v_mul_u32_u24 v[vgprLocalWriteAddrA], 0x40, v0     // lwAL**(DepthU_Compute + PAD)
_v_add_lshl_u32 v[vgprLocalWriteAddrA], v1, v[vgprLocalWriteAddrA], 0x1 // lwFOA = (lwAA + lwAL*(DepthU+PAD))*bpe
v_lshrrev_b32 v4, 7, v[vgprLocalWriteAddrA]        // padding 4 per block 128
v_lshlrev_b32 v4, 0x3, v4                          // padding 4 per block 128
_v_add_u32 v[vgprLocalWriteAddrA], v4, v[vgprLocalWriteAddrA] // add padding 4 per block 128


/* local write addresses: first offset b */

v_mul_u32_u24 v[vgprLocalWriteAddrB], 0x40, v2     // lwBL**(DepthU_Compute + PAD)
_v_add_lshl_u32 v[vgprLocalWriteAddrB], v3, v[vgprLocalWriteAddrB], 0x1 // lwFOB = (lwBB + lwBL*(DepthU+PAD))*bpe
v_lshrrev_b32 v4, 7, v[vgprLocalWriteAddrB]        // padding 4 per block 128
v_lshlrev_b32 v4, 0x3, v4                          // padding 4 per block 128
_v_add_u32 v[vgprLocalWriteAddrB], v4, v[vgprLocalWriteAddrB] // add padding 4 per block 128
_v_add_co_u32 v[vgprLocalWriteAddrB], vcc, 0x8800, v[vgprLocalWriteAddrB] // lwFOB = lwB1J + lwBL*MT1J + LDS_OFFSET_B=17408*2


	;; [unrolled: 1-line block ×7, first 2 shown]
s_waitcnt lgkmcnt(0)                               // wait for 156 bytes of kern args

s_mul_i32 s66, s[sgprWorkGroup2], 8                // offset of global buffer address
_s_load_b64 s[sgprAddressD:sgprAddressD+1], s[sgprAddressD:sgprAddressD+1], s66 // load global buffer D address
v_cmp_eq_f32 vcc, s[sgprBeta], 0.0                 // Beta == 0.0f ?
s_cbranch_vccnz label_skip_c_buffer_deref_WorkGroup2_10 // branch if beta == 0
s_mul_i32 s66, s[sgprWorkGroup2], 8                // offset of global buffer address
_s_load_b64 s[sgprAddressC:sgprAddressC+1], s[sgprAddressC:sgprAddressC+1], s66 // load global buffer C address
label_skip_c_buffer_deref_WorkGroup2_10: // 
s_mov_b32 s66, 0x1                                 // check summation size
s_mul_i32 s66, s[sgprSizesSum+0], s66              // check summation size
s_cmp_eq_u32 s66, 0x0                              // skip buffer deref is size of summation is 0
s_cbranch_scc1 label_skip_ab_buffer_deref_WorkGroup2_11 // skip buffer deref is size of summation is 0
v_cmp_eq_f32 vcc, s[sgprAlpha], 0.0                // Alpha == 0.0f ?
s_cbranch_vccnz label_skip_ab_buffer_deref_WorkGroup2_11 // branch if alpha == 0
s_mul_i32 s66, s[sgprWorkGroup2], 8                // offset of global buffer address
_s_load_b64 s[sgprAddressA:sgprAddressA+1], s[sgprAddressA:sgprAddressA+1], s66 // load global buffer A address
_s_load_b64 s[sgprAddressB:sgprAddressB+1], s[sgprAddressB:sgprAddressB+1], s66 // load global buffer B address
label_skip_ab_buffer_deref_WorkGroup2_11: // 
s_waitcnt lgkmcnt(0)                               // wait global buffer address ready
s_lshl_b64 s[sgprOffsetD:sgprOffsetD+1], s[sgprOffsetD:sgprOffsetD+1], 0x1 // elements offset to bytes offset
s_add_u32 s[sgprSrdD+0], s[sgprAddressD+0], s[sgprOffsetD] // add offset to buffer address
s_addc_u32 s[sgprSrdD+1], s[sgprAddressD+1], s[sgprOffsetD+1] // add offset to buffer address
s_lshl_b64 s[sgprOffsetC:sgprOffsetC+1], s[sgprOffsetC:sgprOffsetC+1], 0x1 // elements offset to bytes offset
s_add_u32 s[sgprSrdC+0], s[sgprAddressC+0], s[sgprOffsetC] // add offset to buffer address
s_addc_u32 s[sgprSrdC+1], s[sgprAddressC+1], s[sgprOffsetC+1] // add offset to buffer address
s_lshl_b64 s[sgprOffsetA:sgprOffsetA+1], s[sgprOffsetA:sgprOffsetA+1], 0x1 // elements offset to bytes offset
s_add_u32 s[sgprSrdA+0], s[sgprAddressA+0], s[sgprOffsetA] // add offset to buffer address
s_addc_u32 s[sgprSrdA+1], s[sgprAddressA+1], s[sgprOffsetA+1] // add offset to buffer address
s_lshl_b64 s[sgprOffsetB:sgprOffsetB+1], s[sgprOffsetB:sgprOffsetB+1], 0x1 // elements offset to bytes offset
s_add_u32 s[sgprSrdB+0], s[sgprAddressB+0], s[sgprOffsetB] // add offset to buffer address
s_addc_u32 s[sgprSrdB+1], s[sgprAddressB+1], s[sgprOffsetB+1] // add offset to buffer address
s_sub_u32 s[sgprSrdA+0], s[sgprSrdA+0], 4          // pre-pad to make room for possible pointer shift
s_subb_u32 s[sgprSrdA+1], s[sgprSrdA+1], 0         // pre-pad to make room for possible pointer shift
s_sub_u32 s[sgprSrdB+0], s[sgprSrdB+0], 4          // pre-pad to make room for possible pointer shift
s_subb_u32 s[sgprSrdB+1], s[sgprSrdB+1], 0         // pre-pad to make room for possible pointer shift

.set OffsetD, UNDEF
.set OffsetC, UNDEF
.set OffsetA, UNDEF
.set OffsetB, UNDEF
.set AddressD, UNDEF
.set AddressC, UNDEF
.set AddressA, UNDEF
.set AddressB, UNDEF

/* Short circuit condition if Alpha == 0, then sumDims=0 */
v_cmp_eq_f32 vcc, s[sgprAlpha], 0.0                // Alpha == 0.0f ?
s_cbranch_vccz label_AlphaNonZero                  // branch if alpha != 0
s_mov_b32 s[sgprSizesSum+0], 0x0                   // Set summation dim=0 if Alpha == 0
label_AlphaNonZero:


	;; [unrolled: 1-line block ×3, first 2 shown]
/******************************************/
/* Begin setupNewTile, isPap=False           */
/******************************************/


/* global read addresses: work-group */

/* graWorkGroup mapping */
s_mov_b32 s37, 0x8888889L                          // magic number for WGM==15
s_mul_hi_u32 s35, s[sgprWorkGroup1], s37           // s_magic mul
s_mul_i32 s34, s[sgprWorkGroup1], s37              // s_magic mul
s_lshr_b64 s[34:35], s[34:35], 31                  // sMagicDiv
s_mul_i32 s35, s34, 15                             // quotient * non-magic divisor
s_sub_u32 s35, s[sgprWorkGroup1], s35              // WorkGroup1=remainder
s_mul_i32 s35, s35, s[sgprNumWorkGroups0]          // (wg1 % WGM)*nwg0
s_add_u32 s35, s35, s[sgprWorkGroup0]              // wgSerial = wg0 + (wg1 % WGM)*nwg1
s_cmp_ge_u32 s34, s[sgprNumFullBlocks]             // blockId >= numFullBlocks ?
s_cmov_b32 s37, s[sgprMagicNumberWgmRemainder1]    // 
s_cselect_b32 s36, s[sgprWgmRemainder1], 15        // 
s_mul_hi_u32 s3, s35, s37                          // s_magic mul
s_mul_i32 s2, s35, s37                             // s_magic mul
s_lshr_b64 s[2:3], s[2:3], 31                      // sMagicDiv
s_mul_i32 s[sgprWorkGroup1], s[sgprWorkGroup0], s36 // quotient * non-magic divisor
s_sub_u32 s[sgprWorkGroup1], s35, s[sgprWorkGroup1] // WorkGroup1=remainder
s_mul_i32 s34, s34, 15                             // blockId * WGM
s_add_u32 s[sgprWorkGroup1], s[sgprWorkGroup1], s34 // wg1 += blockId * WGM


/* global read addresses: unroll assignment a */

/* v1 */


/* global read addresses: unroll assignment b */

/* v3 */


/* global read addresses: other free assignments */

/* s[sgprWorkGroup2] */


/* global read addresses: tile offsets a */

v_mov_b32 v4, v0                                   // groA0I_0
_v_add_co_u32 v5, vcc, 2, v4                       // groA0I_1 += LSPA
_v_add_co_u32 v6, vcc, 2, v5                       // groA0I_2 += LSPA
_v_add_co_u32 v7, vcc, 2, v6                       // groA0I_3 += LSPA
_v_add_co_u32 v8, vcc, 2, v7                       // groA0I_4 += LSPA
_v_add_co_u32 v9, vcc, 2, v8                       // groA0I_5 += LSPA
_v_add_co_u32 v10, vcc, 2, v9                      // groA0I_6 += LSPA
_v_add_co_u32 v11, vcc, 2, v10                     // groA0I_7 += LSPA
_v_add_co_u32 v12, vcc, 2, v11                     // groA0I_8 += LSPA
_v_add_co_u32 v13, vcc, 2, v12                     // groA0I_9 += LSPA
_v_add_co_u32 v14, vcc, 2, v13                     // groA0I_10 += LSPA
_v_add_co_u32 v15, vcc, 2, v14                     // groA0I_11 += LSPA
_v_add_co_u32 v16, vcc, 2, v15                     // groA0I_12 += LSPA
_v_add_co_u32 v17, vcc, 2, v16                     // groA0I_13 += LSPA
_v_add_co_u32 v18, vcc, 2, v17                     // groA0I_14 += LSPA
_v_add_co_u32 v19, vcc, 2, v18                     // groA0I_15 += LSPA
_v_add_co_u32 v20, vcc, 2, v19                     // groA0I_16 += LSPA
_v_add_co_u32 v21, vcc, 2, v20                     // groA0I_17 += LSPA
_v_add_co_u32 v22, vcc, 2, v21                     // groA0I_18 += LSPA
_v_add_co_u32 v23, vcc, 2, v22                     // groA0I_19 += LSPA
_v_add_co_u32 v24, vcc, 2, v23                     // groA0I_20 += LSPA
_v_add_co_u32 v25, vcc, 2, v24                     // groA0I_21 += LSPA
_v_add_co_u32 v26, vcc, 2, v25                     // groA0I_22 += LSPA
_v_add_co_u32 v27, vcc, 2, v26                     // groA0I_23 += LSPA
_v_add_co_u32 v28, vcc, 2, v27                     // groA0I_24 += LSPA
_v_add_co_u32 v29, vcc, 2, v28                     // groA0I_25 += LSPA
_v_add_co_u32 v30, vcc, 2, v29                     // groA0I_26 += LSPA
_v_add_co_u32 v31, vcc, 2, v30                     // groA0I_27 += LSPA
_v_add_co_u32 v32, vcc, 2, v31                     // groA0I_28 += LSPA
_v_add_co_u32 v33, vcc, 2, v32                     // groA0I_29 += LSPA
_v_add_co_u32 v34, vcc, 2, v33                     // groA0I_30 += LSPA
_v_add_co_u32 v35, vcc, 2, v34                     // groA0I_31 += LSPA


/* global read addresses: tile offsets b */

v_mov_b32 v36, v2                                  // groB1J_0
_v_add_co_u32 v37, vcc, 2, v36                     // groB1J_1 += LSPB
_v_add_co_u32 v38, vcc, 2, v37                     // groB1J_2 += LSPB
_v_add_co_u32 v39, vcc, 2, v38                     // groB1J_3 += LSPB
_v_add_co_u32 v40, vcc, 2, v39                     // groB1J_4 += LSPB
_v_add_co_u32 v41, vcc, 2, v40                     // groB1J_5 += LSPB
_v_add_co_u32 v42, vcc, 2, v41                     // groB1J_6 += LSPB
_v_add_co_u32 v43, vcc, 2, v42                     // groB1J_7 += LSPB


/* global read addresses: unroll offsets a */

v_mov_b32 v44, v1                                  // groAL_0


/* global read addresses: unroll offsets b */

v_mov_b32 v45, v3                                  // groBL_0


/* global read addresses: final offsets a */

GLOBAL_OFFSET_A vgprGlobalReadOffsetA+0, 44,  4, 46 // gROA_0_0_0_0
GLOBAL_OFFSET_A vgprGlobalReadOffsetA+1, 44,  5, 46 // gROA_0_0_1_0
GLOBAL_OFFSET_A vgprGlobalReadOffsetA+2, 44,  6, 46 // gROA_0_0_2_0
GLOBAL_OFFSET_A vgprGlobalReadOffsetA+3, 44,  7, 46 // gROA_0_0_3_0
GLOBAL_OFFSET_A vgprGlobalReadOffsetA+4, 44,  8, 46 // gROA_0_0_4_0
GLOBAL_OFFSET_A vgprGlobalReadOffsetA+5, 44,  9, 46 // gROA_0_0_5_0
GLOBAL_OFFSET_A vgprGlobalReadOffsetA+6, 44, 10, 46 // gROA_0_0_6_0
GLOBAL_OFFSET_A vgprGlobalReadOffsetA+7, 44, 11, 46 // gROA_0_0_7_0
GLOBAL_OFFSET_A vgprGlobalReadOffsetA+8, 44, 12, 46 // gROA_0_0_8_0
GLOBAL_OFFSET_A vgprGlobalReadOffsetA+9, 44, 13, 46 // gROA_0_0_9_0
GLOBAL_OFFSET_A vgprGlobalReadOffsetA+10, 44, 14, 46 // gROA_0_0_10_0
GLOBAL_OFFSET_A vgprGlobalReadOffsetA+11, 44, 15, 46 // gROA_0_0_11_0
GLOBAL_OFFSET_A vgprGlobalReadOffsetA+12, 44, 16, 46 // gROA_0_0_12_0
GLOBAL_OFFSET_A vgprGlobalReadOffsetA+13, 44, 17, 46 // gROA_0_0_13_0
GLOBAL_OFFSET_A vgprGlobalReadOffsetA+14, 44, 18, 46 // gROA_0_0_14_0
GLOBAL_OFFSET_A vgprGlobalReadOffsetA+15, 44, 19, 46 // gROA_0_0_15_0
GLOBAL_OFFSET_A vgprGlobalReadOffsetA+16, 44, 20, 46 // gROA_0_0_16_0
GLOBAL_OFFSET_A vgprGlobalReadOffsetA+17, 44, 21, 46 // gROA_0_0_17_0
GLOBAL_OFFSET_A vgprGlobalReadOffsetA+18, 44, 22, 46 // gROA_0_0_18_0
GLOBAL_OFFSET_A vgprGlobalReadOffsetA+19, 44, 23, 46 // gROA_0_0_19_0
GLOBAL_OFFSET_A vgprGlobalReadOffsetA+20, 44, 24, 46 // gROA_0_0_20_0
GLOBAL_OFFSET_A vgprGlobalReadOffsetA+21, 44, 25, 46 // gROA_0_0_21_0
GLOBAL_OFFSET_A vgprGlobalReadOffsetA+22, 44, 26, 46 // gROA_0_0_22_0
GLOBAL_OFFSET_A vgprGlobalReadOffsetA+23, 44, 27, 46 // gROA_0_0_23_0
GLOBAL_OFFSET_A vgprGlobalReadOffsetA+24, 44, 28, 46 // gROA_0_0_24_0
GLOBAL_OFFSET_A vgprGlobalReadOffsetA+25, 44, 29, 46 // gROA_0_0_25_0
GLOBAL_OFFSET_A vgprGlobalReadOffsetA+26, 44, 30, 46 // gROA_0_0_26_0
GLOBAL_OFFSET_A vgprGlobalReadOffsetA+27, 44, 31, 46 // gROA_0_0_27_0
GLOBAL_OFFSET_A vgprGlobalReadOffsetA+28, 44, 32, 46 // gROA_0_0_28_0
GLOBAL_OFFSET_A vgprGlobalReadOffsetA+29, 44, 33, 46 // gROA_0_0_29_0
GLOBAL_OFFSET_A vgprGlobalReadOffsetA+30, 44, 34, 46 // gROA_0_0_30_0
GLOBAL_OFFSET_A vgprGlobalReadOffsetA+31, 44, 35, 46 // gROA_0_0_31_0


/* global read addresses: final offsets b */

GLOBAL_OFFSET_B vgprGlobalReadOffsetB+0, 45, 36, 4 // gROB_0_0_0_0
GLOBAL_OFFSET_B vgprGlobalReadOffsetB+1, 45, 37, 4 // gROB_0_0_1_0
GLOBAL_OFFSET_B vgprGlobalReadOffsetB+2, 45, 38, 4 // gROB_0_0_2_0
GLOBAL_OFFSET_B vgprGlobalReadOffsetB+3, 45, 39, 4 // gROB_0_0_3_0
GLOBAL_OFFSET_B vgprGlobalReadOffsetB+4, 45, 40, 4 // gROB_0_0_4_0
GLOBAL_OFFSET_B vgprGlobalReadOffsetB+5, 45, 41, 4 // gROB_0_0_5_0
GLOBAL_OFFSET_B vgprGlobalReadOffsetB+6, 45, 42, 4 // gROB_0_0_6_0
GLOBAL_OFFSET_B vgprGlobalReadOffsetB+7, 45, 43, 4 // gROB_0_0_7_0


/* global read addresses: addresses a */

/* max read offset = size[n] * stride[n-1] */
s_mul_hi_u32 s37, s[sgprWorkGroup0], 256           // WorkGroup[01] * MT
s_mul_i32 s36, s[sgprWorkGroup0], 256              // WorkGroup[01] * MT
s_mul_hi_u32 s37, s36, s[sgprStrideA0I]            // tlu=0, scaled tile-offset by stride
s_mul_i32 s36, s36, s[sgprStrideA0I]               // tlu=0, scaled tile-offset by stride
s_sub_u32 s[sgprShadowLimitA+0], s[sgprTensor2dSizeA], s36 // sub tileStart
s_subb_u32 s[sgprShadowLimitA+1], s[sgprTensor2dSizeA+1], s37 // sub tileStart
s_lshl_b64 s[sgprShadowLimitA:sgprShadowLimitA+1], s[sgprShadowLimitA:sgprShadowLimitA+1], 0x1 // Set limit to use bytes
s_add_u32 s[sgprShadowLimitA+0], s[sgprShadowLimitA+0], 4 // extend limit for pre-pad
s_addc_u32 s[sgprShadowLimitA+1], s[sgprShadowLimitA+1], 0 // extend limit for pre-pad
s_cmp_eq_u32 s[sgprShadowLimitA+1], 0              // are we within 2^32?
s_cselect_b32 s[sgprSrdA+2], s[sgprShadowLimitA+0], BufferLimitA // Move shadow to real if we are within 2^32
s_lshl_b64 s[36:37], s[36:37], 0x1                 // tileStart *= BPE
s_add_u32 s[sgprSrdA+0], s[sgprSrdA+0], s36        // SRD base = Address+ tileStart0
s_addc_u32 s[sgprSrdA+1], s[sgprSrdA+1], s37       // SRD base = Address+ tileStart1
s_mov_b32 s[sgprSrdA+3], Srd127_96                 // Set bits 127_96 in SRD


/* global read addresses: addresses b */

/* max read offset = size[n] * stride[n-1] */
s_mul_hi_u32 s37, s[sgprWorkGroup1], 64            // WorkGroup[01] * MT
s_mul_i32 s36, s[sgprWorkGroup1], 64               // WorkGroup[01] * MT
s_mul_hi_u32 s37, s36, s[sgprStrideB1J]            // tlu=0, scaled tile-offset by stride
s_mul_i32 s36, s36, s[sgprStrideB1J]               // tlu=0, scaled tile-offset by stride
s_sub_u32 s[sgprShadowLimitB+0], s[sgprTensor2dSizeB], s36 // sub tileStart
s_subb_u32 s[sgprShadowLimitB+1], s[sgprTensor2dSizeB+1], s37 // sub tileStart
s_lshl_b64 s[sgprShadowLimitB:sgprShadowLimitB+1], s[sgprShadowLimitB:sgprShadowLimitB+1], 0x1 // Set limit to use bytes
s_add_u32 s[sgprShadowLimitB+0], s[sgprShadowLimitB+0], 4 // extend limit for pre-pad
s_addc_u32 s[sgprShadowLimitB+1], s[sgprShadowLimitB+1], 0 // extend limit for pre-pad
s_cmp_eq_u32 s[sgprShadowLimitB+1], 0              // are we within 2^32?
s_cselect_b32 s[sgprSrdB+2], s[sgprShadowLimitB+0], BufferLimitB // Move shadow to real if we are within 2^32
s_lshl_b64 s[36:37], s[36:37], 0x1                 // tileStart *= BPE
s_add_u32 s[sgprSrdB+0], s[sgprSrdB+0], s36        // SRD base = Address+ tileStart0
s_addc_u32 s[sgprSrdB+1], s[sgprSrdB+1], s37       // SRD base = Address+ tileStart1
s_mov_b32 s[sgprSrdB+3], Srd127_96                 // Set bits 127_96 in SRD


/* global read addresses: increments a */

s_mov_b32 s[sgprGlobalReadIncsA+0], DepthU*BpeA    // incrA (unrollIdx)


/* global read addresses: increments b */

s_mov_b32 s[sgprGlobalReadIncsB+0], DepthU*BpeB    // incrB (unrollIdx)

/* declare loop num iterations */


s_lshr_b32 s[sgprLoopCounterL], s[sgprSizesSum+0], 6 // s[sgprLoopCounterL] = s[sgprSizesSum+0] / 64
s_mov_b32 s[sgprOrigLoopCounter], s[sgprLoopCounterL] // copy loop counter

/* local read addresses: init pointers a */


/* localReadInitPointers */

/* local read addresses: init pointers b */


/* localReadInitPointers */


/* prefetch: global -> local */

s_cmp_eq_u32 s[sgprLoopCounterL], 0                // at last iteration?
s_cbranch_scc1 ShadowInitStart_12                  // skip to ShadowInitStart iter b/c numIter==0


_buffer_load_b32 v[vgprG2LA+0], v[vgprGlobalReadOffsetA+0], s[sgprSrdA:sgprSrdA+3], 0, offen offset:0 // G -> Reg 0_0_0_0
_buffer_load_b32 v[vgprG2LA+1], v[vgprGlobalReadOffsetA+1], s[sgprSrdA:sgprSrdA+3], 0, offen offset:0 // G -> Reg 0_0_1_0
_buffer_load_b32 v[vgprG2LA+2], v[vgprGlobalReadOffsetA+2], s[sgprSrdA:sgprSrdA+3], 0, offen offset:0 // G -> Reg 0_0_2_0
_buffer_load_b32 v[vgprG2LA+3], v[vgprGlobalReadOffsetA+3], s[sgprSrdA:sgprSrdA+3], 0, offen offset:0 // G -> Reg 0_0_3_0
_buffer_load_b32 v[vgprG2LA+4], v[vgprGlobalReadOffsetA+4], s[sgprSrdA:sgprSrdA+3], 0, offen offset:0 // G -> Reg 0_0_4_0
_buffer_load_b32 v[vgprG2LA+5], v[vgprGlobalReadOffsetA+5], s[sgprSrdA:sgprSrdA+3], 0, offen offset:0 // G -> Reg 0_0_5_0
_buffer_load_b32 v[vgprG2LA+6], v[vgprGlobalReadOffsetA+6], s[sgprSrdA:sgprSrdA+3], 0, offen offset:0 // G -> Reg 0_0_6_0
_buffer_load_b32 v[vgprG2LA+7], v[vgprGlobalReadOffsetA+7], s[sgprSrdA:sgprSrdA+3], 0, offen offset:0 // G -> Reg 0_0_7_0
_buffer_load_b32 v[vgprG2LA+8], v[vgprGlobalReadOffsetA+8], s[sgprSrdA:sgprSrdA+3], 0, offen offset:0 // G -> Reg 0_0_8_0
_buffer_load_b32 v[vgprG2LA+9], v[vgprGlobalReadOffsetA+9], s[sgprSrdA:sgprSrdA+3], 0, offen offset:0 // G -> Reg 0_0_9_0
_buffer_load_b32 v[vgprG2LA+10], v[vgprGlobalReadOffsetA+10], s[sgprSrdA:sgprSrdA+3], 0, offen offset:0 // G -> Reg 0_0_10_0
_buffer_load_b32 v[vgprG2LA+11], v[vgprGlobalReadOffsetA+11], s[sgprSrdA:sgprSrdA+3], 0, offen offset:0 // G -> Reg 0_0_11_0
_buffer_load_b32 v[vgprG2LA+12], v[vgprGlobalReadOffsetA+12], s[sgprSrdA:sgprSrdA+3], 0, offen offset:0 // G -> Reg 0_0_12_0
_buffer_load_b32 v[vgprG2LA+13], v[vgprGlobalReadOffsetA+13], s[sgprSrdA:sgprSrdA+3], 0, offen offset:0 // G -> Reg 0_0_13_0
_buffer_load_b32 v[vgprG2LA+14], v[vgprGlobalReadOffsetA+14], s[sgprSrdA:sgprSrdA+3], 0, offen offset:0 // G -> Reg 0_0_14_0
_buffer_load_b32 v[vgprG2LA+15], v[vgprGlobalReadOffsetA+15], s[sgprSrdA:sgprSrdA+3], 0, offen offset:0 // G -> Reg 0_0_15_0
_buffer_load_b32 v[vgprG2LA+16], v[vgprGlobalReadOffsetA+16], s[sgprSrdA:sgprSrdA+3], 0, offen offset:0 // G -> Reg 0_0_16_0
_buffer_load_b32 v[vgprG2LA+17], v[vgprGlobalReadOffsetA+17], s[sgprSrdA:sgprSrdA+3], 0, offen offset:0 // G -> Reg 0_0_17_0
_buffer_load_b32 v[vgprG2LA+18], v[vgprGlobalReadOffsetA+18], s[sgprSrdA:sgprSrdA+3], 0, offen offset:0 // G -> Reg 0_0_18_0
_buffer_load_b32 v[vgprG2LA+19], v[vgprGlobalReadOffsetA+19], s[sgprSrdA:sgprSrdA+3], 0, offen offset:0 // G -> Reg 0_0_19_0
_buffer_load_b32 v[vgprG2LA+20], v[vgprGlobalReadOffsetA+20], s[sgprSrdA:sgprSrdA+3], 0, offen offset:0 // G -> Reg 0_0_20_0
_buffer_load_b32 v[vgprG2LA+21], v[vgprGlobalReadOffsetA+21], s[sgprSrdA:sgprSrdA+3], 0, offen offset:0 // G -> Reg 0_0_21_0
_buffer_load_b32 v[vgprG2LA+22], v[vgprGlobalReadOffsetA+22], s[sgprSrdA:sgprSrdA+3], 0, offen offset:0 // G -> Reg 0_0_22_0
_buffer_load_b32 v[vgprG2LA+23], v[vgprGlobalReadOffsetA+23], s[sgprSrdA:sgprSrdA+3], 0, offen offset:0 // G -> Reg 0_0_23_0
_buffer_load_b32 v[vgprG2LA+24], v[vgprGlobalReadOffsetA+24], s[sgprSrdA:sgprSrdA+3], 0, offen offset:0 // G -> Reg 0_0_24_0
_buffer_load_b32 v[vgprG2LA+25], v[vgprGlobalReadOffsetA+25], s[sgprSrdA:sgprSrdA+3], 0, offen offset:0 // G -> Reg 0_0_25_0
_buffer_load_b32 v[vgprG2LA+26], v[vgprGlobalReadOffsetA+26], s[sgprSrdA:sgprSrdA+3], 0, offen offset:0 // G -> Reg 0_0_26_0
_buffer_load_b32 v[vgprG2LA+27], v[vgprGlobalReadOffsetA+27], s[sgprSrdA:sgprSrdA+3], 0, offen offset:0 // G -> Reg 0_0_27_0
_buffer_load_b32 v[vgprG2LA+28], v[vgprGlobalReadOffsetA+28], s[sgprSrdA:sgprSrdA+3], 0, offen offset:0 // G -> Reg 0_0_28_0
_buffer_load_b32 v[vgprG2LA+29], v[vgprGlobalReadOffsetA+29], s[sgprSrdA:sgprSrdA+3], 0, offen offset:0 // G -> Reg 0_0_29_0
_buffer_load_b32 v[vgprG2LA+30], v[vgprGlobalReadOffsetA+30], s[sgprSrdA:sgprSrdA+3], 0, offen offset:0 // G -> Reg 0_0_30_0
_buffer_load_b32 v[vgprG2LA+31], v[vgprGlobalReadOffsetA+31], s[sgprSrdA:sgprSrdA+3], 0, offen offset:0 // G -> Reg 0_0_31_0


_buffer_load_b32 v[vgprG2LB+0], v[vgprGlobalReadOffsetB+0], s[sgprSrdB:sgprSrdB+3], 0, offen offset:0 // G -> Reg 0_0_0_0
_buffer_load_b32 v[vgprG2LB+1], v[vgprGlobalReadOffsetB+1], s[sgprSrdB:sgprSrdB+3], 0, offen offset:0 // G -> Reg 0_0_1_0
_buffer_load_b32 v[vgprG2LB+2], v[vgprGlobalReadOffsetB+2], s[sgprSrdB:sgprSrdB+3], 0, offen offset:0 // G -> Reg 0_0_2_0
_buffer_load_b32 v[vgprG2LB+3], v[vgprGlobalReadOffsetB+3], s[sgprSrdB:sgprSrdB+3], 0, offen offset:0 // G -> Reg 0_0_3_0
_buffer_load_b32 v[vgprG2LB+4], v[vgprGlobalReadOffsetB+4], s[sgprSrdB:sgprSrdB+3], 0, offen offset:0 // G -> Reg 0_0_4_0
_buffer_load_b32 v[vgprG2LB+5], v[vgprGlobalReadOffsetB+5], s[sgprSrdB:sgprSrdB+3], 0, offen offset:0 // G -> Reg 0_0_5_0
_buffer_load_b32 v[vgprG2LB+6], v[vgprGlobalReadOffsetB+6], s[sgprSrdB:sgprSrdB+3], 0, offen offset:0 // G -> Reg 0_0_6_0
_buffer_load_b32 v[vgprG2LB+7], v[vgprGlobalReadOffsetB+7], s[sgprSrdB:sgprSrdB+3], 0, offen offset:0 // G -> Reg 0_0_7_0


/* global read inc A loopL */
s_add_u32 s[sgprSrdA+0], s[sgprSrdA+0], s[sgprGlobalReadIncsA+0] // gra SRD += inc(lower)
s_addc_u32  s[sgprSrdA+1], s[sgprSrdA+1], 0        // gra SRD += inc(upper)
s_sub_u32 s[sgprShadowLimitA+0], s[sgprShadowLimitA+0], s[sgprGlobalReadIncsA+0] // limit -= inc)
s_subb_u32 s[sgprShadowLimitA+1], s[sgprShadowLimitA+1], 0 // limit -= inc)
s_cmp_eq_u32 s[sgprShadowLimitA+1], 0              // are we within 2^32?
s_cmov_b32 s[sgprSrdA+2], s[sgprShadowLimitA+0]    // Move shadow to real if we are within 2^32

/* global read inc B loopL */
s_add_u32 s[sgprSrdB+0], s[sgprSrdB+0], s[sgprGlobalReadIncsB+0] // gra SRD += inc(lower)
s_addc_u32  s[sgprSrdB+1], s[sgprSrdB+1], 0        // gra SRD += inc(upper)
s_sub_u32 s[sgprShadowLimitB+0], s[sgprShadowLimitB+0], s[sgprGlobalReadIncsB+0] // limit -= inc)
s_subb_u32 s[sgprShadowLimitB+1], s[sgprShadowLimitB+1], 0 // limit -= inc)
s_cmp_eq_u32 s[sgprShadowLimitB+1], 0              // are we within 2^32?
s_cmov_b32 s[sgprSrdB+2], s[sgprShadowLimitB+0]    // Move shadow to real if we are within 2^32


/******************************************/
/* End setupNewTile, isPap=False             */
/******************************************/

ShadowInitStart_12: // 

s_mov_b32 s[sgprSrdD+2], BufferOOB                 // 
s_mov_b32 s[sgprSrdD+3], Srd127_96                 // Set bits 127_96 in post-loop SRD

s_mov_b32 s[sgprSrdC+2], BufferOOB                 // 
s_mov_b32 s[sgprSrdC+3], Srd127_96                 // Set bits 127_96 in post-loop SRD


s_mul_i32 s36, MT1, s[sgprWorkGroup1]              // <- wg1*MT1
s_mul_hi_u32 s35, s36, s[sgprStrideC1J]            // CScale s36 by Stride
s_mul_i32 s34, s36, s[sgprStrideC1J]               // CScale s36 by Stride
s_lshl_b64 s[34:35], s[34:35], 1                   // scale by bpe
s_add_u32 s[sgprSrdC+0], s[sgprSrdC+0], s34        // add lo to SRD
s_addc_u32 s[sgprSrdC+1], s[sgprSrdC+1], s35       // add hi to SRD
s_mul_hi_u32 s35, s36, s[sgprStrideD1J]            // Scale s36 by Stride
s_mul_i32 s34, s36, s[sgprStrideD1J]               // Scale s36 by Stride
s_lshl_b64 s[34:35], s[34:35], 1                   // scale by bpe
s_add_u32 s[sgprSrdD+0], s[sgprSrdD+0], s34        // add lo to SRD
s_addc_u32 s[sgprSrdD+1], s[sgprSrdD+1], s35       // add hi to SRD


	;; [unrolled: 1-line block ×3, first 2 shown]
/* initC: remove C-tile 0-0 from pool */

/* initC: remove AB-tile 0-80 from pool */
v_accvgpr_write acc0, 0x0                          // initC
v_accvgpr_write acc1, 0x0                          // initC
v_accvgpr_write acc2, 0x0                          // initC
v_accvgpr_write acc3, 0x0                          // initC
v_accvgpr_write acc4, 0x0                          // initC
v_accvgpr_write acc5, 0x0                          // initC
v_accvgpr_write acc6, 0x0                          // initC
v_accvgpr_write acc7, 0x0                          // initC
v_accvgpr_write acc8, 0x0                          // initC
v_accvgpr_write acc9, 0x0                          // initC
v_accvgpr_write acc10, 0x0                         // initC
v_accvgpr_write acc11, 0x0                         // initC
v_accvgpr_write acc12, 0x0                         // initC
v_accvgpr_write acc13, 0x0                         // initC
v_accvgpr_write acc14, 0x0                         // initC
v_accvgpr_write acc15, 0x0                         // initC
v_accvgpr_write acc16, 0x0                         // initC
v_accvgpr_write acc17, 0x0                         // initC
v_accvgpr_write acc18, 0x0                         // initC
v_accvgpr_write acc19, 0x0                         // initC
v_accvgpr_write acc20, 0x0                         // initC
v_accvgpr_write acc21, 0x0                         // initC
v_accvgpr_write acc22, 0x0                         // initC
v_accvgpr_write acc23, 0x0                         // initC
v_accvgpr_write acc24, 0x0                         // initC
v_accvgpr_write acc25, 0x0                         // initC
v_accvgpr_write acc26, 0x0                         // initC
v_accvgpr_write acc27, 0x0                         // initC
v_accvgpr_write acc28, 0x0                         // initC
v_accvgpr_write acc29, 0x0                         // initC
v_accvgpr_write acc30, 0x0                         // initC
v_accvgpr_write acc31, 0x0                         // initC
v_accvgpr_write acc32, 0x0                         // initC
v_accvgpr_write acc33, 0x0                         // initC
v_accvgpr_write acc34, 0x0                         // initC
v_accvgpr_write acc35, 0x0                         // initC
v_accvgpr_write acc36, 0x0                         // initC
v_accvgpr_write acc37, 0x0                         // initC
v_accvgpr_write acc38, 0x0                         // initC
v_accvgpr_write acc39, 0x0                         // initC
v_accvgpr_write acc40, 0x0                         // initC
v_accvgpr_write acc41, 0x0                         // initC
v_accvgpr_write acc42, 0x0                         // initC
v_accvgpr_write acc43, 0x0                         // initC
v_accvgpr_write acc44, 0x0                         // initC
v_accvgpr_write acc45, 0x0                         // initC
v_accvgpr_write acc46, 0x0                         // initC
v_accvgpr_write acc47, 0x0                         // initC
v_accvgpr_write acc48, 0x0                         // initC
v_accvgpr_write acc49, 0x0                         // initC
v_accvgpr_write acc50, 0x0                         // initC
v_accvgpr_write acc51, 0x0                         // initC
v_accvgpr_write acc52, 0x0                         // initC
v_accvgpr_write acc53, 0x0                         // initC
v_accvgpr_write acc54, 0x0                         // initC
v_accvgpr_write acc55, 0x0                         // initC
v_accvgpr_write acc56, 0x0                         // initC
v_accvgpr_write acc57, 0x0                         // initC
v_accvgpr_write acc58, 0x0                         // initC
v_accvgpr_write acc59, 0x0                         // initC
v_accvgpr_write acc60, 0x0                         // initC
v_accvgpr_write acc61, 0x0                         // initC
v_accvgpr_write acc62, 0x0                         // initC
v_accvgpr_write acc63, 0x0                         // initC

s_cmp_eq_u32 s[sgprLoopCounterL], 0                // at last iteration?

/* after InitC, skip to end of prefetch last iter if numIter==0 */
s_cbranch_scc0 label_NoBranch_13                   // Only branch on scc1
s_getpc_B64 s[34:35]                               // addr of next instr
s_add_i32 s36, PrefetchGlobalLastIterEnd_5, 0x4    // target branch offset
s_add_u32 s34, s34, s36                            // add target branch offset
s_addc_u32 s35, s35, 0                             // add high and carry
s_setpc_b64 s[34:35]                               // branch to PrefetchGlobalLastIterEnd_5
label_NoBranch_13:

s_waitcnt vmcnt(0)                                 // lgkmcnt=-1 vmcnt=0 8wait for global read


/* local write a */
_ds_store_b32 v[vgprLocalWriteAddrA], v[vgprG2LA+0] offset:0 // lwoA_0_0_0_0 = (0*LSCA)*(MT0I+PAD) + (0*LSPA) = 0
_ds_store_b32 v[vgprLocalWriteAddrA], v[vgprG2LA+1] offset:272 // lwoA_0_0_1_0 = (0*LSCA)*(MT0I+PAD) + (1*LSPA) = 272
_ds_store_b32 v[vgprLocalWriteAddrA], v[vgprG2LA+2] offset:544 // lwoA_0_0_2_0 = (0*LSCA)*(MT0I+PAD) + (2*LSPA) = 544
_ds_store_b32 v[vgprLocalWriteAddrA], v[vgprG2LA+3] offset:816 // lwoA_0_0_3_0 = (0*LSCA)*(MT0I+PAD) + (3*LSPA) = 816
_ds_store_b32 v[vgprLocalWriteAddrA], v[vgprG2LA+4] offset:1088 // lwoA_0_0_4_0 = (0*LSCA)*(MT0I+PAD) + (4*LSPA) = 1088
_ds_store_b32 v[vgprLocalWriteAddrA], v[vgprG2LA+5] offset:1360 // lwoA_0_0_5_0 = (0*LSCA)*(MT0I+PAD) + (5*LSPA) = 1360
_ds_store_b32 v[vgprLocalWriteAddrA], v[vgprG2LA+6] offset:1632 // lwoA_0_0_6_0 = (0*LSCA)*(MT0I+PAD) + (6*LSPA) = 1632
_ds_store_b32 v[vgprLocalWriteAddrA], v[vgprG2LA+7] offset:1904 // lwoA_0_0_7_0 = (0*LSCA)*(MT0I+PAD) + (7*LSPA) = 1904
_ds_store_b32 v[vgprLocalWriteAddrA], v[vgprG2LA+8] offset:2176 // lwoA_0_0_8_0 = (0*LSCA)*(MT0I+PAD) + (8*LSPA) = 2176
_ds_store_b32 v[vgprLocalWriteAddrA], v[vgprG2LA+9] offset:2448 // lwoA_0_0_9_0 = (0*LSCA)*(MT0I+PAD) + (9*LSPA) = 2448
_ds_store_b32 v[vgprLocalWriteAddrA], v[vgprG2LA+10] offset:2720 // lwoA_0_0_10_0 = (0*LSCA)*(MT0I+PAD) + (10*LSPA) = 2720
_ds_store_b32 v[vgprLocalWriteAddrA], v[vgprG2LA+11] offset:2992 // lwoA_0_0_11_0 = (0*LSCA)*(MT0I+PAD) + (11*LSPA) = 2992
_ds_store_b32 v[vgprLocalWriteAddrA], v[vgprG2LA+12] offset:3264 // lwoA_0_0_12_0 = (0*LSCA)*(MT0I+PAD) + (12*LSPA) = 3264
_ds_store_b32 v[vgprLocalWriteAddrA], v[vgprG2LA+13] offset:3536 // lwoA_0_0_13_0 = (0*LSCA)*(MT0I+PAD) + (13*LSPA) = 3536
_ds_store_b32 v[vgprLocalWriteAddrA], v[vgprG2LA+14] offset:3808 // lwoA_0_0_14_0 = (0*LSCA)*(MT0I+PAD) + (14*LSPA) = 3808
_ds_store_b32 v[vgprLocalWriteAddrA], v[vgprG2LA+15] offset:4080 // lwoA_0_0_15_0 = (0*LSCA)*(MT0I+PAD) + (15*LSPA) = 4080
_ds_store_b32 v[vgprLocalWriteAddrA], v[vgprG2LA+16] offset:4352 // lwoA_0_0_16_0 = (0*LSCA)*(MT0I+PAD) + (16*LSPA) = 4352
_ds_store_b32 v[vgprLocalWriteAddrA], v[vgprG2LA+17] offset:4624 // lwoA_0_0_17_0 = (0*LSCA)*(MT0I+PAD) + (17*LSPA) = 4624
_ds_store_b32 v[vgprLocalWriteAddrA], v[vgprG2LA+18] offset:4896 // lwoA_0_0_18_0 = (0*LSCA)*(MT0I+PAD) + (18*LSPA) = 4896
_ds_store_b32 v[vgprLocalWriteAddrA], v[vgprG2LA+19] offset:5168 // lwoA_0_0_19_0 = (0*LSCA)*(MT0I+PAD) + (19*LSPA) = 5168
_ds_store_b32 v[vgprLocalWriteAddrA], v[vgprG2LA+20] offset:5440 // lwoA_0_0_20_0 = (0*LSCA)*(MT0I+PAD) + (20*LSPA) = 5440
_ds_store_b32 v[vgprLocalWriteAddrA], v[vgprG2LA+21] offset:5712 // lwoA_0_0_21_0 = (0*LSCA)*(MT0I+PAD) + (21*LSPA) = 5712
_ds_store_b32 v[vgprLocalWriteAddrA], v[vgprG2LA+22] offset:5984 // lwoA_0_0_22_0 = (0*LSCA)*(MT0I+PAD) + (22*LSPA) = 5984
_ds_store_b32 v[vgprLocalWriteAddrA], v[vgprG2LA+23] offset:6256 // lwoA_0_0_23_0 = (0*LSCA)*(MT0I+PAD) + (23*LSPA) = 6256
_ds_store_b32 v[vgprLocalWriteAddrA], v[vgprG2LA+24] offset:6528 // lwoA_0_0_24_0 = (0*LSCA)*(MT0I+PAD) + (24*LSPA) = 6528
_ds_store_b32 v[vgprLocalWriteAddrA], v[vgprG2LA+25] offset:6800 // lwoA_0_0_25_0 = (0*LSCA)*(MT0I+PAD) + (25*LSPA) = 6800
_ds_store_b32 v[vgprLocalWriteAddrA], v[vgprG2LA+26] offset:7072 // lwoA_0_0_26_0 = (0*LSCA)*(MT0I+PAD) + (26*LSPA) = 7072
_ds_store_b32 v[vgprLocalWriteAddrA], v[vgprG2LA+27] offset:7344 // lwoA_0_0_27_0 = (0*LSCA)*(MT0I+PAD) + (27*LSPA) = 7344
_ds_store_b32 v[vgprLocalWriteAddrA], v[vgprG2LA+28] offset:7616 // lwoA_0_0_28_0 = (0*LSCA)*(MT0I+PAD) + (28*LSPA) = 7616
_ds_store_b32 v[vgprLocalWriteAddrA], v[vgprG2LA+29] offset:7888 // lwoA_0_0_29_0 = (0*LSCA)*(MT0I+PAD) + (29*LSPA) = 7888
_ds_store_b32 v[vgprLocalWriteAddrA], v[vgprG2LA+30] offset:8160 // lwoA_0_0_30_0 = (0*LSCA)*(MT0I+PAD) + (30*LSPA) = 8160
_ds_store_b32 v[vgprLocalWriteAddrA], v[vgprG2LA+31] offset:8432 // lwoA_0_0_31_0 = (0*LSCA)*(MT0I+PAD) + (31*LSPA) = 8432

/* local write b */
_ds_store_b32 v[vgprLocalWriteAddrB], v[vgprG2LB+0] offset:0 // lwoB_0_0_0_0 = (0*LSCB)*(MT1J+PAD) + (0*LSPB) = 0
_ds_store_b32 v[vgprLocalWriteAddrB], v[vgprG2LB+1] offset:272 // lwoB_0_0_1_0 = (0*LSCB)*(MT1J+PAD) + (1*LSPB) = 272
_ds_store_b32 v[vgprLocalWriteAddrB], v[vgprG2LB+2] offset:544 // lwoB_0_0_2_0 = (0*LSCB)*(MT1J+PAD) + (2*LSPB) = 544
_ds_store_b32 v[vgprLocalWriteAddrB], v[vgprG2LB+3] offset:816 // lwoB_0_0_3_0 = (0*LSCB)*(MT1J+PAD) + (3*LSPB) = 816
_ds_store_b32 v[vgprLocalWriteAddrB], v[vgprG2LB+4] offset:1088 // lwoB_0_0_4_0 = (0*LSCB)*(MT1J+PAD) + (4*LSPB) = 1088
_ds_store_b32 v[vgprLocalWriteAddrB], v[vgprG2LB+5] offset:1360 // lwoB_0_0_5_0 = (0*LSCB)*(MT1J+PAD) + (5*LSPB) = 1360
_ds_store_b32 v[vgprLocalWriteAddrB], v[vgprG2LB+6] offset:1632 // lwoB_0_0_6_0 = (0*LSCB)*(MT1J+PAD) + (6*LSPB) = 1632
_ds_store_b32 v[vgprLocalWriteAddrB], v[vgprG2LB+7] offset:1904 // lwoB_0_0_7_0 = (0*LSCB)*(MT1J+PAD) + (7*LSPB) = 1904


/* local write swap a */


	;; [unrolled: 1-line block ×3, first 2 shown]
/* local write swap b */


	;; [unrolled: 1-line block ×4, first 2 shown]
s_waitcnt lgkmcnt(0)                               // lgkmcnt=0 vmcnt=-10prefetch wait for local write

s_waitcnt lgkmcnt(0) & vmcnt(0)                    // force waitcnt0
s_barrier //


/* local read prefetch a */

_ds_load_b64 v[vgprValuA_X0_I0+0:vgprValuA_X0_I0+0+1], v[vgprLocalReadAddrA] offset:0 // L -> Reg lro=0 swapByteOffset=0 ti=64 vIdx=0 rIdx=0 oIdx=0 buffer=0 iui=0
_ds_load_b64 v[vgprValuA_X0_I0+2:vgprValuA_X0_I0+2+1], v[vgprLocalReadAddrA] offset:8704 // L -> Reg lro=0 swapByteOffset=0 ti=64 vIdx=1 rIdx=0 oIdx=0 buffer=0 iui=0
	;; [unrolled: 1-line block ×4, first 2 shown]


/* local read prefetch b */

_ds_load_b64 v[vgprValuB_X0_I0+0:vgprValuB_X0_I0+0+1], v[vgprLocalReadAddrB] offset:0 // L -> Reg lro=0 swapByteOffset=0 ti=64 vIdx=0 rIdx=0 oIdx=0 buffer=0 iui=0


/* local read inc a */

/* N/A, lro->8 */
/* self.localReadDoCntA 1 self.localReadDoCntB 1 */


/* local read inc b */

/* N/A, lro->8 */
/* self.localReadDoCntA 1 self.localReadDoCntB 1 */



/******************************************/
/* Unrolled Loop(s) - Begin               */
/******************************************/

openLoopL_14:
s_cmp_le_u32 s[sgprLoopCounterL], 0x1              // LoopCounterL < EndCounter
s_cbranch_scc1 LoopEndL_2                          // do not enter LoopL
LoopBeginL_1:


/******************************************/
/* Unrolled Loop 1/2 - Begin              */
/******************************************/

label_0015: // LoopCopy1 


/* Begin Each Unroll: Check VGPR.checkin for INT8 LW */


	;; [unrolled: 1-line block ×3, first 2 shown]
/* iter 0 */

/*  grEndMfmaIndex:39, lwStartMfmaIndex:39, lwEndMfmaIndex:59  */
/*  numMfmaForLR:2, barrierMfmaIndex:61 */
/*  mfmaIndex:0  */
_buffer_load_b32 v[vgprG2LA+0], v[vgprGlobalReadOffsetA+0], s[sgprSrdA:sgprSrdA+3], 0, offen offset:0 // G -> Reg 0_0_0_0
s_waitcnt lgkmcnt(0)                               // lgkmcnt=0 vmcnt=-1wait for prior local read local write old=0, new=0 newLW=0 newLR=0
v_mfma_f32_32x32x4bf16 a[0+0:15+0], v[vgprValuA_X0_I0+0+0+0], v[vgprValuB_X0_I0+0+0+0], a[0:15]
/*  mfmaIndex:1  */
_ds_load_b64 v[vgprValuA_X2_I0+0:vgprValuA_X2_I0+0+1], v[vgprLocalReadAddrA] offset:16 // L -> Reg lro=8 swapByteOffset=0 ti=64 vIdx=0 rIdx=0 oIdx=0 buffer=2 iui=0
_ds_load_b64 v[vgprValuB_X2_I0+0:vgprValuB_X2_I0+0+1], v[vgprLocalReadAddrB] offset:16 // L -> Reg lro=8 swapByteOffset=0 ti=64 vIdx=0 rIdx=0 oIdx=0 buffer=2 iui=0
_ds_load_b64 v[vgprValuA_X2_I0+2:vgprValuA_X2_I0+2+1], v[vgprLocalReadAddrA] offset:8720 // L -> Reg lro=8 swapByteOffset=0 ti=64 vIdx=1 rIdx=0 oIdx=0 buffer=2 iui=0
_ds_load_b64 v[vgprValuA_X2_I0+4:vgprValuA_X2_I0+4+1], v[vgprLocalReadAddrA] offset:17424 // L -> Reg lro=8 swapByteOffset=0 ti=64 vIdx=2 rIdx=0 oIdx=0 buffer=2 iui=0
	;; [unrolled: 1-line block ×3, first 2 shown]
/* localReadsVacancy: latencyLeft 3 */
_ds_load_b64 v[vgprValuA_X4_I0+0:vgprValuA_X4_I0+0+1], v[vgprLocalReadAddrA] offset:32 // L -> Reg lro=16 swapByteOffset=0 ti=64 vIdx=0 rIdx=0 oIdx=0 buffer=4 iui=0
_buffer_load_b32 v[vgprG2LA+1], v[vgprGlobalReadOffsetA+1], s[sgprSrdA:sgprSrdA+3], 0, offen offset:0 // G -> Reg 0_0_1_0
v_mfma_f32_32x32x4bf16 a[16+0:31+0], v[vgprValuA_X0_I0+2+0+0], v[vgprValuB_X0_I0+0+0+0], a[16:31]
/*  mfmaIndex:2  */
/* localReadsVacancy: latencyLeft 13 */
_ds_load_b64 v[vgprValuB_X4_I0+0:vgprValuB_X4_I0+0+1], v[vgprLocalReadAddrB] offset:32 // L -> Reg lro=16 swapByteOffset=0 ti=64 vIdx=0 rIdx=0 oIdx=0 buffer=4 iui=0
_ds_load_b64 v[vgprValuA_X4_I0+2:vgprValuA_X4_I0+2+1], v[vgprLocalReadAddrA] offset:8736 // L -> Reg lro=16 swapByteOffset=0 ti=64 vIdx=1 rIdx=0 oIdx=0 buffer=4 iui=0
_ds_load_b64 v[vgprValuA_X4_I0+4:vgprValuA_X4_I0+4+1], v[vgprLocalReadAddrA] offset:17440 // L -> Reg lro=16 swapByteOffset=0 ti=64 vIdx=2 rIdx=0 oIdx=0 buffer=4 iui=0
	;; [unrolled: 1-line block ×3, first 2 shown]
_ds_load_b64 v[vgprValuA_X6_I0+0:vgprValuA_X6_I0+0+1], v[vgprLocalReadAddrA] offset:48 // L -> Reg lro=24 swapByteOffset=0 ti=64 vIdx=0 rIdx=0 oIdx=0 buffer=6 iui=0
_ds_load_b64 v[vgprValuB_X6_I0+0:vgprValuB_X6_I0+0+1], v[vgprLocalReadAddrB] offset:48 // L -> Reg lro=24 swapByteOffset=0 ti=64 vIdx=0 rIdx=0 oIdx=0 buffer=6 iui=0
_buffer_load_b32 v[vgprG2LA+2], v[vgprGlobalReadOffsetA+2], s[sgprSrdA:sgprSrdA+3], 0, offen offset:0 // G -> Reg 0_0_2_0
v_mfma_f32_32x32x4bf16 a[32+0:47+0], v[vgprValuA_X0_I0+4+0+0], v[vgprValuB_X0_I0+0+0+0], a[32:47]
/*  mfmaIndex:3  */
/* localReadsVacancy: latencyLeft 13 */
_ds_load_b64 v[vgprValuA_X6_I0+2:vgprValuA_X6_I0+2+1], v[vgprLocalReadAddrA] offset:8752 // L -> Reg lro=24 swapByteOffset=0 ti=64 vIdx=1 rIdx=0 oIdx=0 buffer=6 iui=0
_ds_load_b64 v[vgprValuA_X6_I0+4:vgprValuA_X6_I0+4+1], v[vgprLocalReadAddrA] offset:17456 // L -> Reg lro=24 swapByteOffset=0 ti=64 vIdx=2 rIdx=0 oIdx=0 buffer=6 iui=0
	;; [unrolled: 1-line block ×3, first 2 shown]
_ds_load_b64 v[vgprValuA_X8_I0+0:vgprValuA_X8_I0+0+1], v[vgprLocalReadAddrA] offset:64 // L -> Reg lro=32 swapByteOffset=0 ti=64 vIdx=0 rIdx=0 oIdx=0 buffer=8 iui=0
_ds_load_b64 v[vgprValuB_X8_I0+0:vgprValuB_X8_I0+0+1], v[vgprLocalReadAddrB] offset:64 // L -> Reg lro=32 swapByteOffset=0 ti=64 vIdx=0 rIdx=0 oIdx=0 buffer=8 iui=0
_ds_load_b64 v[vgprValuA_X8_I0+2:vgprValuA_X8_I0+2+1], v[vgprLocalReadAddrA] offset:8768 // L -> Reg lro=32 swapByteOffset=0 ti=64 vIdx=1 rIdx=0 oIdx=0 buffer=8 iui=0
_buffer_load_b32 v[vgprG2LA+3], v[vgprGlobalReadOffsetA+3], s[sgprSrdA:sgprSrdA+3], 0, offen offset:0 // G -> Reg 0_0_3_0
v_mfma_f32_32x32x4bf16 a[48+0:63+0], v[vgprValuA_X0_I0+6+0+0], v[vgprValuB_X0_I0+0+0+0], a[48:63]
/* numPrefetchIter=0 */
/* dataAtIterA=-1 numReadsIterA=1 skipReadsIterA=1 readsPerIterA=4 */
/* dataAtIterB=-1 numReadsIterB=1 skipReadsIterB=1 readsPerIterB=1 */


/* iter 1 */

/*  grEndMfmaIndex:39, lwStartMfmaIndex:39, lwEndMfmaIndex:59  */
/*  numMfmaForLR:2, barrierMfmaIndex:61 */
/*  mfmaIndex:4  */
/* localReadsVacancy: latencyLeft 13 */
_ds_load_b64 v[vgprValuA_X8_I0+4:vgprValuA_X8_I0+4+1], v[vgprLocalReadAddrA] offset:17472 // L -> Reg lro=32 swapByteOffset=0 ti=64 vIdx=2 rIdx=0 oIdx=0 buffer=8 iui=0
_ds_load_b64 v[vgprValuA_X8_I0+6:vgprValuA_X8_I0+6+1], v[vgprLocalReadAddrA] offset:26176 // L -> Reg lro=32 swapByteOffset=0 ti=64 vIdx=3 rIdx=0 oIdx=0 buffer=8 iui=0
_ds_load_b64 v[vgprValuA_X10_I0+0:vgprValuA_X10_I0+0+1], v[vgprLocalReadAddrA] offset:80 // L -> Reg lro=40 swapByteOffset=0 ti=64 vIdx=0 rIdx=0 oIdx=0 buffer=10 iui=0
_ds_load_b64 v[vgprValuB_X10_I0+0:vgprValuB_X10_I0+0+1], v[vgprLocalReadAddrB] offset:80 // L -> Reg lro=40 swapByteOffset=0 ti=64 vIdx=0 rIdx=0 oIdx=0 buffer=10 iui=0
_ds_load_b64 v[vgprValuA_X10_I0+2:vgprValuA_X10_I0+2+1], v[vgprLocalReadAddrA] offset:8784 // L -> Reg lro=40 swapByteOffset=0 ti=64 vIdx=1 rIdx=0 oIdx=0 buffer=10 iui=0
_ds_load_b64 v[vgprValuA_X10_I0+4:vgprValuA_X10_I0+4+1], v[vgprLocalReadAddrA] offset:17488 // L -> Reg lro=40 swapByteOffset=0 ti=64 vIdx=2 rIdx=0 oIdx=0 buffer=10 iui=0
_buffer_load_b32 v[vgprG2LA+4], v[vgprGlobalReadOffsetA+4], s[sgprSrdA:sgprSrdA+3], 0, offen offset:0 // G -> Reg 0_0_4_0
s_waitcnt lgkmcnt(15)                              // lgkmcnt=0 vmcnt=-1wait for prior local read local write old=5, new=10 newLW=0 newLR=5
v_mfma_f32_32x32x4bf16 a[0+0:15+0], v[vgprValuA_X0_I0+0+1+0], v[vgprValuB_X0_I0+0+1+0], a[0:15]
/*  mfmaIndex:5  */
/* localReadsVacancy: latencyLeft 13 */
_ds_load_b64 v[vgprValuA_X10_I0+6:vgprValuA_X10_I0+6+1], v[vgprLocalReadAddrA] offset:26192 // L -> Reg lro=40 swapByteOffset=0 ti=64 vIdx=3 rIdx=0 oIdx=0 buffer=10 iui=0
_ds_load_b64 v[vgprValuA_X12_I0+0:vgprValuA_X12_I0+0+1], v[vgprLocalReadAddrA] offset:96 // L -> Reg lro=48 swapByteOffset=0 ti=64 vIdx=0 rIdx=0 oIdx=0 buffer=12 iui=0
_ds_load_b64 v[vgprValuB_X12_I0+0:vgprValuB_X12_I0+0+1], v[vgprLocalReadAddrB] offset:96 // L -> Reg lro=48 swapByteOffset=0 ti=64 vIdx=0 rIdx=0 oIdx=0 buffer=12 iui=0
_ds_load_b64 v[vgprValuA_X12_I0+2:vgprValuA_X12_I0+2+1], v[vgprLocalReadAddrA] offset:8800 // L -> Reg lro=48 swapByteOffset=0 ti=64 vIdx=1 rIdx=0 oIdx=0 buffer=12 iui=0
_ds_load_b64 v[vgprValuA_X12_I0+4:vgprValuA_X12_I0+4+1], v[vgprLocalReadAddrA] offset:17504 // L -> Reg lro=48 swapByteOffset=0 ti=64 vIdx=2 rIdx=0 oIdx=0 buffer=12 iui=0
_ds_load_b64 v[vgprValuA_X12_I0+6:vgprValuA_X12_I0+6+1], v[vgprLocalReadAddrA] offset:26208 // L -> Reg lro=48 swapByteOffset=0 ti=64 vIdx=3 rIdx=0 oIdx=0 buffer=12 iui=0
_buffer_load_b32 v[vgprG2LA+5], v[vgprGlobalReadOffsetA+5], s[sgprSrdA:sgprSrdA+3], 0, offen offset:0 // G -> Reg 0_0_5_0
v_mfma_f32_32x32x4bf16 a[16+0:31+0], v[vgprValuA_X0_I0+2+1+0], v[vgprValuB_X0_I0+0+1+0], a[16:31]
/*  mfmaIndex:6  */
/* localReadsVacancy: latencyLeft 13 */
_ds_load_b64 v[vgprValuA_X14_I0+0:vgprValuA_X14_I0+0+1], v[vgprLocalReadAddrA] offset:112 // L -> Reg lro=56 swapByteOffset=0 ti=64 vIdx=0 rIdx=0 oIdx=0 buffer=14 iui=0
_ds_load_b64 v[vgprValuB_X14_I0+0:vgprValuB_X14_I0+0+1], v[vgprLocalReadAddrB] offset:112 // L -> Reg lro=56 swapByteOffset=0 ti=64 vIdx=0 rIdx=0 oIdx=0 buffer=14 iui=0
_ds_load_b64 v[vgprValuA_X14_I0+2:vgprValuA_X14_I0+2+1], v[vgprLocalReadAddrA] offset:8816 // L -> Reg lro=56 swapByteOffset=0 ti=64 vIdx=1 rIdx=0 oIdx=0 buffer=14 iui=0
_ds_load_b64 v[vgprValuA_X14_I0+4:vgprValuA_X14_I0+4+1], v[vgprLocalReadAddrA] offset:17520 // L -> Reg lro=56 swapByteOffset=0 ti=64 vIdx=2 rIdx=0 oIdx=0 buffer=14 iui=0
	;; [unrolled: 1-line block ×3, first 2 shown]
_buffer_load_b32 v[vgprG2LA+6], v[vgprGlobalReadOffsetA+6], s[sgprSrdA:sgprSrdA+3], 0, offen offset:0 // G -> Reg 0_0_6_0
v_mfma_f32_32x32x4bf16 a[32+0:47+0], v[vgprValuA_X0_I0+4+1+0], v[vgprValuB_X0_I0+0+1+0], a[32:47]
/*  mfmaIndex:7  */
/* localReadsVacancy: latencyLeft 13 */
_buffer_load_b32 v[vgprG2LA+7], v[vgprGlobalReadOffsetA+7], s[sgprSrdA:sgprSrdA+3], 0, offen offset:0 // G -> Reg 0_0_7_0
v_mfma_f32_32x32x4bf16 a[48+0:63+0], v[vgprValuA_X0_I0+6+1+0], v[vgprValuB_X0_I0+0+1+0], a[48:63]
/* numPrefetchIter=0 */
/* dataAtIterA=-1 numReadsIterA=2 skipReadsIterA=2 readsPerIterA=4 */
/* dataAtIterB=-1 numReadsIterB=2 skipReadsIterB=2 readsPerIterB=1 */


/* iter 2 */

/*  grEndMfmaIndex:39, lwStartMfmaIndex:39, lwEndMfmaIndex:59  */
/*  numMfmaForLR:2, barrierMfmaIndex:61 */
/*  mfmaIndex:8  */
/* localReadsVacancy: latencyLeft 13 */
_buffer_load_b32 v[vgprG2LA+8], v[vgprGlobalReadOffsetA+8], s[sgprSrdA:sgprSrdA+3], 0, offen offset:0 // G -> Reg 0_0_8_0
s_waitcnt lgkmcnt(15)                              // lgkmcnt=0 vmcnt=-1wait for prior local read local write old=0, new=5 newLW=0 newLR=5
v_mfma_f32_32x32x4bf16 a[0+0:15+0], v[vgprValuA_X2_I0+0+0+0], v[vgprValuB_X2_I0+0+0+0], a[0:15]
/*  mfmaIndex:9  */
/* localReadsVacancy: latencyLeft 13 */
_buffer_load_b32 v[vgprG2LA+9], v[vgprGlobalReadOffsetA+9], s[sgprSrdA:sgprSrdA+3], 0, offen offset:0 // G -> Reg 0_0_9_0
v_mfma_f32_32x32x4bf16 a[16+0:31+0], v[vgprValuA_X2_I0+2+0+0], v[vgprValuB_X2_I0+0+0+0], a[16:31]
/*  mfmaIndex:10  */
/* localReadsVacancy: latencyLeft 13 */
_buffer_load_b32 v[vgprG2LA+10], v[vgprGlobalReadOffsetA+10], s[sgprSrdA:sgprSrdA+3], 0, offen offset:0 // G -> Reg 0_0_10_0
v_mfma_f32_32x32x4bf16 a[32+0:47+0], v[vgprValuA_X2_I0+4+0+0], v[vgprValuB_X2_I0+0+0+0], a[32:47]
/*  mfmaIndex:11  */
/* localReadsVacancy: latencyLeft 13 */
_buffer_load_b32 v[vgprG2LA+11], v[vgprGlobalReadOffsetA+11], s[sgprSrdA:sgprSrdA+3], 0, offen offset:0 // G -> Reg 0_0_11_0
v_mfma_f32_32x32x4bf16 a[48+0:63+0], v[vgprValuA_X2_I0+6+0+0], v[vgprValuB_X2_I0+0+0+0], a[48:63]
/* numPrefetchIter=0 */
/* dataAtIterA=0 numReadsIterA=3 skipReadsIterA=2 readsPerIterA=4 */
/* dataAtIterB=0 numReadsIterB=3 skipReadsIterB=2 readsPerIterB=1 */


/* iter 3 */

/*  grEndMfmaIndex:39, lwStartMfmaIndex:39, lwEndMfmaIndex:59  */
/*  numMfmaForLR:2, barrierMfmaIndex:61 */
/*  mfmaIndex:12  */
/* localReadsVacancy: latencyLeft 13 */
_buffer_load_b32 v[vgprG2LA+12], v[vgprGlobalReadOffsetA+12], s[sgprSrdA:sgprSrdA+3], 0, offen offset:0 // G -> Reg 0_0_12_0
s_waitcnt lgkmcnt(15)                              // lgkmcnt=0 vmcnt=-1wait for prior local read local write old=2, new=12 newLW=0 newLR=10
v_mfma_f32_32x32x4bf16 a[0+0:15+0], v[vgprValuA_X2_I0+0+1+0], v[vgprValuB_X2_I0+0+1+0], a[0:15]
/*  mfmaIndex:13  */
/* localReadsVacancy: latencyLeft 13 */
_buffer_load_b32 v[vgprG2LA+13], v[vgprGlobalReadOffsetA+13], s[sgprSrdA:sgprSrdA+3], 0, offen offset:0 // G -> Reg 0_0_13_0
v_mfma_f32_32x32x4bf16 a[16+0:31+0], v[vgprValuA_X2_I0+2+1+0], v[vgprValuB_X2_I0+0+1+0], a[16:31]
/*  mfmaIndex:14  */
/* localReadsVacancy: latencyLeft 13 */
_buffer_load_b32 v[vgprG2LA+14], v[vgprGlobalReadOffsetA+14], s[sgprSrdA:sgprSrdA+3], 0, offen offset:0 // G -> Reg 0_0_14_0
v_mfma_f32_32x32x4bf16 a[32+0:47+0], v[vgprValuA_X2_I0+4+1+0], v[vgprValuB_X2_I0+0+1+0], a[32:47]
/*  mfmaIndex:15  */
/* localReadsVacancy: latencyLeft 13 */
_buffer_load_b32 v[vgprG2LA+15], v[vgprGlobalReadOffsetA+15], s[sgprSrdA:sgprSrdA+3], 0, offen offset:0 // G -> Reg 0_0_15_0
v_mfma_f32_32x32x4bf16 a[48+0:63+0], v[vgprValuA_X2_I0+6+1+0], v[vgprValuB_X2_I0+0+1+0], a[48:63]
/* numPrefetchIter=0 */
/* dataAtIterA=0 numReadsIterA=4 skipReadsIterA=3 readsPerIterA=4 */
/* dataAtIterB=0 numReadsIterB=4 skipReadsIterB=3 readsPerIterB=1 */


/* iter 4 */

/*  grEndMfmaIndex:39, lwStartMfmaIndex:39, lwEndMfmaIndex:59  */
/*  numMfmaForLR:2, barrierMfmaIndex:61 */
/*  mfmaIndex:16  */
/* localReadsVacancy: latencyLeft 13 */
_buffer_load_b32 v[vgprG2LA+16], v[vgprGlobalReadOffsetA+16], s[sgprSrdA:sgprSrdA+3], 0, offen offset:0 // G -> Reg 0_0_16_0
s_waitcnt lgkmcnt(15)                              // lgkmcnt=0 vmcnt=-1wait for prior local read local write old=5, new=15 newLW=0 newLR=10
v_mfma_f32_32x32x4bf16 a[0+0:15+0], v[vgprValuA_X4_I0+0+0+0], v[vgprValuB_X4_I0+0+0+0], a[0:15]
/*  mfmaIndex:17  */
/* localReadsVacancy: latencyLeft 13 */
_buffer_load_b32 v[vgprG2LA+17], v[vgprGlobalReadOffsetA+17], s[sgprSrdA:sgprSrdA+3], 0, offen offset:0 // G -> Reg 0_0_17_0
v_mfma_f32_32x32x4bf16 a[16+0:31+0], v[vgprValuA_X4_I0+2+0+0], v[vgprValuB_X4_I0+0+0+0], a[16:31]
/*  mfmaIndex:18  */
/* localReadsVacancy: latencyLeft 13 */
_buffer_load_b32 v[vgprG2LA+18], v[vgprGlobalReadOffsetA+18], s[sgprSrdA:sgprSrdA+3], 0, offen offset:0 // G -> Reg 0_0_18_0
v_mfma_f32_32x32x4bf16 a[32+0:47+0], v[vgprValuA_X4_I0+4+0+0], v[vgprValuB_X4_I0+0+0+0], a[32:47]
/*  mfmaIndex:19  */
/* localReadsVacancy: latencyLeft 13 */
_buffer_load_b32 v[vgprG2LA+19], v[vgprGlobalReadOffsetA+19], s[sgprSrdA:sgprSrdA+3], 0, offen offset:0 // G -> Reg 0_0_19_0
v_mfma_f32_32x32x4bf16 a[48+0:63+0], v[vgprValuA_X4_I0+6+0+0], v[vgprValuB_X4_I0+0+0+0], a[48:63]
/* numPrefetchIter=0 */
/* dataAtIterA=1 numReadsIterA=5 skipReadsIterA=3 readsPerIterA=4 */
/* dataAtIterB=1 numReadsIterB=5 skipReadsIterB=3 readsPerIterB=1 */


/* iter 5 */

/*  grEndMfmaIndex:39, lwStartMfmaIndex:39, lwEndMfmaIndex:59  */
/*  numMfmaForLR:2, barrierMfmaIndex:61 */
/*  mfmaIndex:20  */
/* localReadsVacancy: latencyLeft 13 */
_buffer_load_b32 v[vgprG2LA+20], v[vgprGlobalReadOffsetA+20], s[sgprSrdA:sgprSrdA+3], 0, offen offset:0 // G -> Reg 0_0_20_0
s_waitcnt lgkmcnt(15)                              // lgkmcnt=0 vmcnt=-1wait for prior local read local write old=5, new=20 newLW=0 newLR=15
v_mfma_f32_32x32x4bf16 a[0+0:15+0], v[vgprValuA_X4_I0+0+1+0], v[vgprValuB_X4_I0+0+1+0], a[0:15]
/*  mfmaIndex:21  */
/* localReadsVacancy: latencyLeft 13 */
_buffer_load_b32 v[vgprG2LA+21], v[vgprGlobalReadOffsetA+21], s[sgprSrdA:sgprSrdA+3], 0, offen offset:0 // G -> Reg 0_0_21_0
v_mfma_f32_32x32x4bf16 a[16+0:31+0], v[vgprValuA_X4_I0+2+1+0], v[vgprValuB_X4_I0+0+1+0], a[16:31]
/*  mfmaIndex:22  */
/* localReadsVacancy: latencyLeft 13 */
_buffer_load_b32 v[vgprG2LA+22], v[vgprGlobalReadOffsetA+22], s[sgprSrdA:sgprSrdA+3], 0, offen offset:0 // G -> Reg 0_0_22_0
v_mfma_f32_32x32x4bf16 a[32+0:47+0], v[vgprValuA_X4_I0+4+1+0], v[vgprValuB_X4_I0+0+1+0], a[32:47]
/*  mfmaIndex:23  */
/* localReadsVacancy: latencyLeft 13 */
_buffer_load_b32 v[vgprG2LA+23], v[vgprGlobalReadOffsetA+23], s[sgprSrdA:sgprSrdA+3], 0, offen offset:0 // G -> Reg 0_0_23_0
v_mfma_f32_32x32x4bf16 a[48+0:63+0], v[vgprValuA_X4_I0+6+1+0], v[vgprValuB_X4_I0+0+1+0], a[48:63]
/* numPrefetchIter=0 */
/* dataAtIterA=1 numReadsIterA=6 skipReadsIterA=4 readsPerIterA=4 */
/* dataAtIterB=1 numReadsIterB=6 skipReadsIterB=4 readsPerIterB=1 */


/* iter 6 */

/*  grEndMfmaIndex:39, lwStartMfmaIndex:39, lwEndMfmaIndex:59  */
/*  numMfmaForLR:2, barrierMfmaIndex:61 */
/*  mfmaIndex:24  */
/* localReadsVacancy: latencyLeft 13 */
_buffer_load_b32 v[vgprG2LA+24], v[vgprGlobalReadOffsetA+24], s[sgprSrdA:sgprSrdA+3], 0, offen offset:0 // G -> Reg 0_0_24_0
s_waitcnt lgkmcnt(15)                              // lgkmcnt=0 vmcnt=-1wait for prior local read local write old=5, new=20 newLW=0 newLR=15
v_mfma_f32_32x32x4bf16 a[0+0:15+0], v[vgprValuA_X6_I0+0+0+0], v[vgprValuB_X6_I0+0+0+0], a[0:15]
/*  mfmaIndex:25  */
/* localReadsVacancy: latencyLeft 13 */
_buffer_load_b32 v[vgprG2LA+25], v[vgprGlobalReadOffsetA+25], s[sgprSrdA:sgprSrdA+3], 0, offen offset:0 // G -> Reg 0_0_25_0
v_mfma_f32_32x32x4bf16 a[16+0:31+0], v[vgprValuA_X6_I0+2+0+0], v[vgprValuB_X6_I0+0+0+0], a[16:31]
/*  mfmaIndex:26  */
/* localReadsVacancy: latencyLeft 13 */
_buffer_load_b32 v[vgprG2LA+26], v[vgprGlobalReadOffsetA+26], s[sgprSrdA:sgprSrdA+3], 0, offen offset:0 // G -> Reg 0_0_26_0
v_mfma_f32_32x32x4bf16 a[32+0:47+0], v[vgprValuA_X6_I0+4+0+0], v[vgprValuB_X6_I0+0+0+0], a[32:47]
/*  mfmaIndex:27  */
/* localReadsVacancy: latencyLeft 13 */
_buffer_load_b32 v[vgprG2LA+27], v[vgprGlobalReadOffsetA+27], s[sgprSrdA:sgprSrdA+3], 0, offen offset:0 // G -> Reg 0_0_27_0
v_mfma_f32_32x32x4bf16 a[48+0:63+0], v[vgprValuA_X6_I0+6+0+0], v[vgprValuB_X6_I0+0+0+0], a[48:63]
/* numPrefetchIter=0 */
/* dataAtIterA=2 numReadsIterA=7 skipReadsIterA=4 readsPerIterA=4 */
/* dataAtIterB=2 numReadsIterB=7 skipReadsIterB=4 readsPerIterB=1 */


/* iter 7 */

/*  grEndMfmaIndex:39, lwStartMfmaIndex:39, lwEndMfmaIndex:59  */
/*  numMfmaForLR:2, barrierMfmaIndex:61 */
/*  mfmaIndex:28  */
/* localReadsVacancy: latencyLeft 13 */
_buffer_load_b32 v[vgprG2LA+28], v[vgprGlobalReadOffsetA+28], s[sgprSrdA:sgprSrdA+3], 0, offen offset:0 // G -> Reg 0_0_28_0
s_waitcnt lgkmcnt(15)                              // lgkmcnt=0 vmcnt=-1wait for prior local read local write old=0, new=20 newLW=0 newLR=20
v_mfma_f32_32x32x4bf16 a[0+0:15+0], v[vgprValuA_X6_I0+0+1+0], v[vgprValuB_X6_I0+0+1+0], a[0:15]
/*  mfmaIndex:29  */
/* localReadsVacancy: latencyLeft 13 */
_buffer_load_b32 v[vgprG2LA+29], v[vgprGlobalReadOffsetA+29], s[sgprSrdA:sgprSrdA+3], 0, offen offset:0 // G -> Reg 0_0_29_0
v_mfma_f32_32x32x4bf16 a[16+0:31+0], v[vgprValuA_X6_I0+2+1+0], v[vgprValuB_X6_I0+0+1+0], a[16:31]
/*  mfmaIndex:30  */
/* localReadsVacancy: latencyLeft 13 */
_buffer_load_b32 v[vgprG2LA+30], v[vgprGlobalReadOffsetA+30], s[sgprSrdA:sgprSrdA+3], 0, offen offset:0 // G -> Reg 0_0_30_0
v_mfma_f32_32x32x4bf16 a[32+0:47+0], v[vgprValuA_X6_I0+4+1+0], v[vgprValuB_X6_I0+0+1+0], a[32:47]
/*  mfmaIndex:31  */
/* localReadsVacancy: latencyLeft 13 */
_buffer_load_b32 v[vgprG2LA+31], v[vgprGlobalReadOffsetA+31], s[sgprSrdA:sgprSrdA+3], 0, offen offset:0 // G -> Reg 0_0_31_0
v_mfma_f32_32x32x4bf16 a[48+0:63+0], v[vgprValuA_X6_I0+6+1+0], v[vgprValuB_X6_I0+0+1+0], a[48:63]
/* numPrefetchIter=0 */
/* dataAtIterA=2 numReadsIterA=7 skipReadsIterA=4 readsPerIterA=4 */
/* dataAtIterB=2 numReadsIterB=7 skipReadsIterB=4 readsPerIterB=1 */


/* iter 8 */

/*  grEndMfmaIndex:39, lwStartMfmaIndex:39, lwEndMfmaIndex:59  */
/*  numMfmaForLR:2, barrierMfmaIndex:61 */
/*  mfmaIndex:32  */
/* localReadsVacancy: latencyLeft 13 */
_buffer_load_b32 v[vgprG2LB+0], v[vgprGlobalReadOffsetB+0], s[sgprSrdB:sgprSrdB+3], 0, offen offset:0 // G -> Reg 0_0_0_0
s_waitcnt lgkmcnt(15)                              // lgkmcnt=0 vmcnt=-1wait for prior local read local write old=0, new=15 newLW=0 newLR=15
v_mfma_f32_32x32x4bf16 a[0+0:15+0], v[vgprValuA_X8_I0+0+0+0], v[vgprValuB_X8_I0+0+0+0], a[0:15]
/*  mfmaIndex:33  */
/* localReadsVacancy: latencyLeft 13 */
_buffer_load_b32 v[vgprG2LB+1], v[vgprGlobalReadOffsetB+1], s[sgprSrdB:sgprSrdB+3], 0, offen offset:0 // G -> Reg 0_0_1_0
v_mfma_f32_32x32x4bf16 a[16+0:31+0], v[vgprValuA_X8_I0+2+0+0], v[vgprValuB_X8_I0+0+0+0], a[16:31]
/*  mfmaIndex:34  */
/* localReadsVacancy: latencyLeft 13 */
_buffer_load_b32 v[vgprG2LB+2], v[vgprGlobalReadOffsetB+2], s[sgprSrdB:sgprSrdB+3], 0, offen offset:0 // G -> Reg 0_0_2_0
v_mfma_f32_32x32x4bf16 a[32+0:47+0], v[vgprValuA_X8_I0+4+0+0], v[vgprValuB_X8_I0+0+0+0], a[32:47]
/*  mfmaIndex:35  */
/* localReadsVacancy: latencyLeft 13 */
_buffer_load_b32 v[vgprG2LB+3], v[vgprGlobalReadOffsetB+3], s[sgprSrdB:sgprSrdB+3], 0, offen offset:0 // G -> Reg 0_0_3_0
v_mfma_f32_32x32x4bf16 a[48+0:63+0], v[vgprValuA_X8_I0+6+0+0], v[vgprValuB_X8_I0+0+0+0], a[48:63]
/* numPrefetchIter=0 */
/* dataAtIterA=3 numReadsIterA=7 skipReadsIterA=3 readsPerIterA=4 */
/* dataAtIterB=3 numReadsIterB=7 skipReadsIterB=3 readsPerIterB=1 */


/* iter 9 */

/*  grEndMfmaIndex:39, lwStartMfmaIndex:39, lwEndMfmaIndex:59  */
/*  numMfmaForLR:2, barrierMfmaIndex:61 */
/*  mfmaIndex:36  */
/* localReadsVacancy: latencyLeft 13 */
_buffer_load_b32 v[vgprG2LB+4], v[vgprGlobalReadOffsetB+4], s[sgprSrdB:sgprSrdB+3], 0, offen offset:0 // G -> Reg 0_0_4_0
s_waitcnt lgkmcnt(15)                              // lgkmcnt=0 vmcnt=-1wait for prior local read local write old=0, new=15 newLW=0 newLR=15
v_mfma_f32_32x32x4bf16 a[0+0:15+0], v[vgprValuA_X8_I0+0+1+0], v[vgprValuB_X8_I0+0+1+0], a[0:15]
/*  mfmaIndex:37  */
/* localReadsVacancy: latencyLeft 13 */
_buffer_load_b32 v[vgprG2LB+5], v[vgprGlobalReadOffsetB+5], s[sgprSrdB:sgprSrdB+3], 0, offen offset:0 // G -> Reg 0_0_5_0
v_mfma_f32_32x32x4bf16 a[16+0:31+0], v[vgprValuA_X8_I0+2+1+0], v[vgprValuB_X8_I0+0+1+0], a[16:31]
/*  mfmaIndex:38  */
/* localReadsVacancy: latencyLeft 13 */
_buffer_load_b32 v[vgprG2LB+6], v[vgprGlobalReadOffsetB+6], s[sgprSrdB:sgprSrdB+3], 0, offen offset:0 // G -> Reg 0_0_6_0
/* 1 LDS buffer: read-sync-write */
s_waitcnt lgkmcnt(0)                               // 
s_barrier                                          // 
v_mfma_f32_32x32x4bf16 a[32+0:47+0], v[vgprValuA_X8_I0+4+1+0], v[vgprValuB_X8_I0+0+1+0], a[32:47]
/*  mfmaIndex:39  */
/* localReadsVacancy: latencyLeft 13 */
_buffer_load_b32 v[vgprG2LB+7], v[vgprGlobalReadOffsetB+7], s[sgprSrdB:sgprSrdB+3], 0, offen offset:0 // G -> Reg 0_0_7_0
/* sched write - iter 9 writesPerItem=1 */
s_waitcnt vmcnt(0)                                 // lgkmcnt=-1 vmcnt=0wait for global read before writing to local
_ds_store_b32 v[vgprLocalWriteAddrA], v[vgprG2LA+0] offset:0 // lwoA_0_0_0_0 = (0*LSCA)*(MT0I+PAD) + (0*LSPA) = 0
v_mfma_f32_32x32x4bf16 a[48+0:63+0], v[vgprValuA_X8_I0+6+1+0], v[vgprValuB_X8_I0+0+1+0], a[48:63]
/* numPrefetchIter=0 */
/* dataAtIterA=3 numReadsIterA=7 skipReadsIterA=3 readsPerIterA=4 */
/* dataAtIterB=3 numReadsIterB=7 skipReadsIterB=3 readsPerIterB=1 */


/* iter 10 */

/*  grEndMfmaIndex:39, lwStartMfmaIndex:39, lwEndMfmaIndex:59  */
/*  numMfmaForLR:2, barrierMfmaIndex:61 */
/*  mfmaIndex:40  */

/* global read inc A loopL */
s_add_u32 s[sgprSrdA+0], s[sgprSrdA+0], s[sgprGlobalReadIncsA+0] // gra SRD += inc(lower)
s_addc_u32  s[sgprSrdA+1], s[sgprSrdA+1], 0        // gra SRD += inc(upper)
s_sub_u32 s[sgprShadowLimitA+0], s[sgprShadowLimitA+0], s[sgprGlobalReadIncsA+0] // limit -= inc)
s_subb_u32 s[sgprShadowLimitA+1], s[sgprShadowLimitA+1], 0 // limit -= inc)
s_cmp_eq_u32 s[sgprShadowLimitA+1], 0              // are we within 2^32?
s_cmov_b32 s[sgprSrdA+2], s[sgprShadowLimitA+0]    // Move shadow to real if we are within 2^32

/* global read inc B loopL */
s_add_u32 s[sgprSrdB+0], s[sgprSrdB+0], s[sgprGlobalReadIncsB+0] // gra SRD += inc(lower)
/* sched write - iter 10 writesPerItem=1 */
s_waitcnt vmcnt(0)                                 // lgkmcnt=-1 vmcnt=0wait for global read before writing to local
_ds_store_b32 v[vgprLocalWriteAddrA], v[vgprG2LA+1] offset:272 // lwoA_0_0_1_0 = (0*LSCA)*(MT0I+PAD) + (1*LSPA) = 272
v_mfma_f32_32x32x4bf16 a[0+0:15+0], v[vgprValuA_X10_I0+0+0+0], v[vgprValuB_X10_I0+0+0+0], a[0:15]
/*  mfmaIndex:41  */
s_addc_u32  s[sgprSrdB+1], s[sgprSrdB+1], 0        // gra SRD += inc(upper)
s_sub_u32 s[sgprShadowLimitB+0], s[sgprShadowLimitB+0], s[sgprGlobalReadIncsB+0] // limit -= inc)
s_subb_u32 s[sgprShadowLimitB+1], s[sgprShadowLimitB+1], 0 // limit -= inc)
s_cmp_eq_u32 s[sgprShadowLimitB+1], 0              // are we within 2^32?
s_cmov_b32 s[sgprSrdB+2], s[sgprShadowLimitB+0]    // Move shadow to real if we are within 2^32
/* sched write - iter 10 writesPerItem=1 */
s_waitcnt vmcnt(0)                                 // lgkmcnt=-1 vmcnt=0wait for global read before writing to local
_ds_store_b32 v[vgprLocalWriteAddrA], v[vgprG2LA+2] offset:544 // lwoA_0_0_2_0 = (0*LSCA)*(MT0I+PAD) + (2*LSPA) = 544
v_mfma_f32_32x32x4bf16 a[16+0:31+0], v[vgprValuA_X10_I0+2+0+0], v[vgprValuB_X10_I0+0+0+0], a[16:31]
/*  mfmaIndex:42  */
/* sched write - iter 10 writesPerItem=1 */
s_waitcnt vmcnt(0)                                 // lgkmcnt=-1 vmcnt=0wait for global read before writing to local
_ds_store_b32 v[vgprLocalWriteAddrA], v[vgprG2LA+3] offset:816 // lwoA_0_0_3_0 = (0*LSCA)*(MT0I+PAD) + (3*LSPA) = 816
v_mfma_f32_32x32x4bf16 a[32+0:47+0], v[vgprValuA_X10_I0+4+0+0], v[vgprValuB_X10_I0+0+0+0], a[32:47]
/*  mfmaIndex:43  */
/* sched write - iter 10 writesPerItem=1 */
s_waitcnt vmcnt(0)                                 // lgkmcnt=-1 vmcnt=0wait for global read before writing to local
_ds_store_b32 v[vgprLocalWriteAddrA], v[vgprG2LA+4] offset:1088 // lwoA_0_0_4_0 = (0*LSCA)*(MT0I+PAD) + (4*LSPA) = 1088
v_mfma_f32_32x32x4bf16 a[48+0:63+0], v[vgprValuA_X10_I0+6+0+0], v[vgprValuB_X10_I0+0+0+0], a[48:63]


/* iter 11 */

/*  grEndMfmaIndex:39, lwStartMfmaIndex:39, lwEndMfmaIndex:59  */
/*  numMfmaForLR:2, barrierMfmaIndex:61 */
/*  mfmaIndex:44  */
/* sched write - iter 11 writesPerItem=1 */
s_waitcnt vmcnt(0)                                 // lgkmcnt=-1 vmcnt=0wait for global read before writing to local
_ds_store_b32 v[vgprLocalWriteAddrA], v[vgprG2LA+5] offset:1360 // lwoA_0_0_5_0 = (0*LSCA)*(MT0I+PAD) + (5*LSPA) = 1360
v_mfma_f32_32x32x4bf16 a[0+0:15+0], v[vgprValuA_X10_I0+0+1+0], v[vgprValuB_X10_I0+0+1+0], a[0:15]
/*  mfmaIndex:45  */
/* sched write - iter 11 writesPerItem=1 */
s_waitcnt vmcnt(0)                                 // lgkmcnt=-1 vmcnt=0wait for global read before writing to local
_ds_store_b32 v[vgprLocalWriteAddrA], v[vgprG2LA+6] offset:1632 // lwoA_0_0_6_0 = (0*LSCA)*(MT0I+PAD) + (6*LSPA) = 1632
v_mfma_f32_32x32x4bf16 a[16+0:31+0], v[vgprValuA_X10_I0+2+1+0], v[vgprValuB_X10_I0+0+1+0], a[16:31]
/*  mfmaIndex:46  */
/* sched write - iter 11 writesPerItem=1 */
s_waitcnt vmcnt(0)                                 // lgkmcnt=-1 vmcnt=0wait for global read before writing to local
_ds_store_b32 v[vgprLocalWriteAddrA], v[vgprG2LA+7] offset:1904 // lwoA_0_0_7_0 = (0*LSCA)*(MT0I+PAD) + (7*LSPA) = 1904
v_mfma_f32_32x32x4bf16 a[32+0:47+0], v[vgprValuA_X10_I0+4+1+0], v[vgprValuB_X10_I0+0+1+0], a[32:47]
/*  mfmaIndex:47  */
/* sched write - iter 11 writesPerItem=1 */
s_waitcnt vmcnt(0)                                 // lgkmcnt=-1 vmcnt=0wait for global read before writing to local
_ds_store_b32 v[vgprLocalWriteAddrA], v[vgprG2LA+8] offset:2176 // lwoA_0_0_8_0 = (0*LSCA)*(MT0I+PAD) + (8*LSPA) = 2176
v_mfma_f32_32x32x4bf16 a[48+0:63+0], v[vgprValuA_X10_I0+6+1+0], v[vgprValuB_X10_I0+0+1+0], a[48:63]


/* iter 12 */

/*  grEndMfmaIndex:39, lwStartMfmaIndex:39, lwEndMfmaIndex:59  */
/*  numMfmaForLR:2, barrierMfmaIndex:61 */
/*  mfmaIndex:48  */
/* sched write - iter 12 writesPerItem=1 */
s_waitcnt vmcnt(0)                                 // lgkmcnt=-1 vmcnt=0wait for global read before writing to local
_ds_store_b32 v[vgprLocalWriteAddrA], v[vgprG2LA+9] offset:2448 // lwoA_0_0_9_0 = (0*LSCA)*(MT0I+PAD) + (9*LSPA) = 2448
v_mfma_f32_32x32x4bf16 a[0+0:15+0], v[vgprValuA_X12_I0+0+0+0], v[vgprValuB_X12_I0+0+0+0], a[0:15]
/*  mfmaIndex:49  */
/* sched write - iter 12 writesPerItem=1 */
s_waitcnt vmcnt(0)                                 // lgkmcnt=-1 vmcnt=0wait for global read before writing to local
_ds_store_b32 v[vgprLocalWriteAddrA], v[vgprG2LA+10] offset:2720 // lwoA_0_0_10_0 = (0*LSCA)*(MT0I+PAD) + (10*LSPA) = 2720
v_mfma_f32_32x32x4bf16 a[16+0:31+0], v[vgprValuA_X12_I0+2+0+0], v[vgprValuB_X12_I0+0+0+0], a[16:31]
/*  mfmaIndex:50  */
/* sched write - iter 12 writesPerItem=1 */
s_waitcnt vmcnt(0)                                 // lgkmcnt=-1 vmcnt=0wait for global read before writing to local
_ds_store_b32 v[vgprLocalWriteAddrA], v[vgprG2LA+11] offset:2992 // lwoA_0_0_11_0 = (0*LSCA)*(MT0I+PAD) + (11*LSPA) = 2992
v_mfma_f32_32x32x4bf16 a[32+0:47+0], v[vgprValuA_X12_I0+4+0+0], v[vgprValuB_X12_I0+0+0+0], a[32:47]
/*  mfmaIndex:51  */
/* sched write - iter 12 writesPerItem=1 */
s_waitcnt vmcnt(0)                                 // lgkmcnt=-1 vmcnt=0wait for global read before writing to local
_ds_store_b32 v[vgprLocalWriteAddrA], v[vgprG2LA+12] offset:3264 // lwoA_0_0_12_0 = (0*LSCA)*(MT0I+PAD) + (12*LSPA) = 3264
v_mfma_f32_32x32x4bf16 a[48+0:63+0], v[vgprValuA_X12_I0+6+0+0], v[vgprValuB_X12_I0+0+0+0], a[48:63]


/* iter 13 */

/*  grEndMfmaIndex:39, lwStartMfmaIndex:39, lwEndMfmaIndex:59  */
/*  numMfmaForLR:2, barrierMfmaIndex:61 */
/*  mfmaIndex:52  */
/* sched write - iter 13 writesPerItem=1 */
s_waitcnt vmcnt(0)                                 // lgkmcnt=-1 vmcnt=0wait for global read before writing to local
_ds_store_b32 v[vgprLocalWriteAddrA], v[vgprG2LA+13] offset:3536 // lwoA_0_0_13_0 = (0*LSCA)*(MT0I+PAD) + (13*LSPA) = 3536
v_mfma_f32_32x32x4bf16 a[0+0:15+0], v[vgprValuA_X12_I0+0+1+0], v[vgprValuB_X12_I0+0+1+0], a[0:15]
/*  mfmaIndex:53  */
/* sched write - iter 13 writesPerItem=1 */
s_waitcnt vmcnt(0)                                 // lgkmcnt=-1 vmcnt=0wait for global read before writing to local
_ds_store_b32 v[vgprLocalWriteAddrA], v[vgprG2LA+14] offset:3808 // lwoA_0_0_14_0 = (0*LSCA)*(MT0I+PAD) + (14*LSPA) = 3808
v_mfma_f32_32x32x4bf16 a[16+0:31+0], v[vgprValuA_X12_I0+2+1+0], v[vgprValuB_X12_I0+0+1+0], a[16:31]
/*  mfmaIndex:54  */
/* sched write - iter 13 writesPerItem=1 */
s_waitcnt vmcnt(0)                                 // lgkmcnt=-1 vmcnt=0wait for global read before writing to local
_ds_store_b32 v[vgprLocalWriteAddrA], v[vgprG2LA+15] offset:4080 // lwoA_0_0_15_0 = (0*LSCA)*(MT0I+PAD) + (15*LSPA) = 4080
v_mfma_f32_32x32x4bf16 a[32+0:47+0], v[vgprValuA_X12_I0+4+1+0], v[vgprValuB_X12_I0+0+1+0], a[32:47]
/*  mfmaIndex:55  */
/* sched write - iter 13 writesPerItem=1 */
s_waitcnt vmcnt(0)                                 // lgkmcnt=-1 vmcnt=0wait for global read before writing to local
_ds_store_b32 v[vgprLocalWriteAddrA], v[vgprG2LA+16] offset:4352 // lwoA_0_0_16_0 = (0*LSCA)*(MT0I+PAD) + (16*LSPA) = 4352
v_mfma_f32_32x32x4bf16 a[48+0:63+0], v[vgprValuA_X12_I0+6+1+0], v[vgprValuB_X12_I0+0+1+0], a[48:63]


/* iter 14 (reset local read pointers iteration)  (swap and reset local write pointers iteration)  (swap local read pointers iteration)  */

/*  grEndMfmaIndex:39, lwStartMfmaIndex:39, lwEndMfmaIndex:59  */
/*  numMfmaForLR:2, barrierMfmaIndex:61 */
/*  mfmaIndex:56  */
/* sched write - iter 14 writesPerItem=1 */
s_waitcnt vmcnt(0)                                 // lgkmcnt=-1 vmcnt=0wait for global read before writing to local
_ds_store_b32 v[vgprLocalWriteAddrA], v[vgprG2LA+17] offset:4624 // lwoA_0_0_17_0 = (0*LSCA)*(MT0I+PAD) + (17*LSPA) = 4624
v_mfma_f32_32x32x4bf16 a[0+0:15+0], v[vgprValuA_X14_I0+0+0+0], v[vgprValuB_X14_I0+0+0+0], a[0:15]
/*  mfmaIndex:57  */
/* sched write - iter 14 writesPerItem=1 */
s_waitcnt vmcnt(0)                                 // lgkmcnt=-1 vmcnt=0wait for global read before writing to local
_ds_store_b32 v[vgprLocalWriteAddrA], v[vgprG2LA+18] offset:4896 // lwoA_0_0_18_0 = (0*LSCA)*(MT0I+PAD) + (18*LSPA) = 4896
v_mfma_f32_32x32x4bf16 a[16+0:31+0], v[vgprValuA_X14_I0+2+0+0], v[vgprValuB_X14_I0+0+0+0], a[16:31]
/*  mfmaIndex:58  */
/* sched write - iter 14 writesPerItem=1 */
s_waitcnt vmcnt(0)                                 // lgkmcnt=-1 vmcnt=0wait for global read before writing to local
_ds_store_b32 v[vgprLocalWriteAddrA], v[vgprG2LA+19] offset:5168 // lwoA_0_0_19_0 = (0*LSCA)*(MT0I+PAD) + (19*LSPA) = 5168
v_mfma_f32_32x32x4bf16 a[32+0:47+0], v[vgprValuA_X14_I0+4+0+0], v[vgprValuB_X14_I0+0+0+0], a[32:47]
/*  mfmaIndex:59  */
/* sched write - iter 14 writesPerItem=1 */
s_waitcnt vmcnt(0)                                 // lgkmcnt=-1 vmcnt=0wait for global read before writing to local
_ds_store_b32 v[vgprLocalWriteAddrA], v[vgprG2LA+20] offset:5440 // lwoA_0_0_20_0 = (0*LSCA)*(MT0I+PAD) + (20*LSPA) = 5440
/* sched write - iter 14 writesPerItem=1 */
s_waitcnt vmcnt(0)                                 // lgkmcnt=-1 vmcnt=0wait for global read before writing to local
_ds_store_b32 v[vgprLocalWriteAddrA], v[vgprG2LA+21] offset:5712 // lwoA_0_0_21_0 = (0*LSCA)*(MT0I+PAD) + (21*LSPA) = 5712
/* sched write - iter 14 writesPerItem=1 */
s_waitcnt vmcnt(0)                                 // lgkmcnt=-1 vmcnt=0wait for global read before writing to local
_ds_store_b32 v[vgprLocalWriteAddrA], v[vgprG2LA+22] offset:5984 // lwoA_0_0_22_0 = (0*LSCA)*(MT0I+PAD) + (22*LSPA) = 5984
/* sched write - iter 14 writesPerItem=1 */
s_waitcnt vmcnt(0)                                 // lgkmcnt=-1 vmcnt=0wait for global read before writing to local
_ds_store_b32 v[vgprLocalWriteAddrA], v[vgprG2LA+23] offset:6256 // lwoA_0_0_23_0 = (0*LSCA)*(MT0I+PAD) + (23*LSPA) = 6256
/* sched write - iter 14 writesPerItem=1 */
s_waitcnt vmcnt(0)                                 // lgkmcnt=-1 vmcnt=0wait for global read before writing to local
_ds_store_b32 v[vgprLocalWriteAddrA], v[vgprG2LA+24] offset:6528 // lwoA_0_0_24_0 = (0*LSCA)*(MT0I+PAD) + (24*LSPA) = 6528
/* sched write - iter 14 writesPerItem=1 */
s_waitcnt vmcnt(0)                                 // lgkmcnt=-1 vmcnt=0wait for global read before writing to local
_ds_store_b32 v[vgprLocalWriteAddrA], v[vgprG2LA+25] offset:6800 // lwoA_0_0_25_0 = (0*LSCA)*(MT0I+PAD) + (25*LSPA) = 6800
/* sched write - iter 14 writesPerItem=1 */
s_waitcnt vmcnt(0)                                 // lgkmcnt=-1 vmcnt=0wait for global read before writing to local
_ds_store_b32 v[vgprLocalWriteAddrA], v[vgprG2LA+26] offset:7072 // lwoA_0_0_26_0 = (0*LSCA)*(MT0I+PAD) + (26*LSPA) = 7072
/* sched write - iter 14 writesPerItem=1 */
s_waitcnt vmcnt(0)                                 // lgkmcnt=-1 vmcnt=0wait for global read before writing to local
_ds_store_b32 v[vgprLocalWriteAddrA], v[vgprG2LA+27] offset:7344 // lwoA_0_0_27_0 = (0*LSCA)*(MT0I+PAD) + (27*LSPA) = 7344
/* sched write - iter 14 writesPerItem=1 */
s_waitcnt vmcnt(0)                                 // lgkmcnt=-1 vmcnt=0wait for global read before writing to local
_ds_store_b32 v[vgprLocalWriteAddrA], v[vgprG2LA+28] offset:7616 // lwoA_0_0_28_0 = (0*LSCA)*(MT0I+PAD) + (28*LSPA) = 7616
/* sched write - iter 14 writesPerItem=1 */
s_waitcnt vmcnt(0)                                 // lgkmcnt=-1 vmcnt=0wait for global read before writing to local
_ds_store_b32 v[vgprLocalWriteAddrA], v[vgprG2LA+29] offset:7888 // lwoA_0_0_29_0 = (0*LSCA)*(MT0I+PAD) + (29*LSPA) = 7888
/* sched write - iter 14 writesPerItem=1 */
s_waitcnt vmcnt(0)                                 // lgkmcnt=-1 vmcnt=0wait for global read before writing to local
_ds_store_b32 v[vgprLocalWriteAddrA], v[vgprG2LA+30] offset:8160 // lwoA_0_0_30_0 = (0*LSCA)*(MT0I+PAD) + (30*LSPA) = 8160
/* sched write - iter 14 writesPerItem=1 */
s_waitcnt vmcnt(0)                                 // lgkmcnt=-1 vmcnt=0wait for global read before writing to local
_ds_store_b32 v[vgprLocalWriteAddrA], v[vgprG2LA+31] offset:8432 // lwoA_0_0_31_0 = (0*LSCA)*(MT0I+PAD) + (31*LSPA) = 8432
/* sched write - iter 14 writesPerItem=1 */
s_waitcnt vmcnt(0)                                 // lgkmcnt=-1 vmcnt=0wait for global read before writing to local
_ds_store_b32 v[vgprLocalWriteAddrB], v[vgprG2LB+0] offset:0 // lwoB_0_0_0_0 = (0*LSCB)*(MT1J+PAD) + (0*LSPB) = 0
/* sched write - iter 14 writesPerItem=1 */
s_waitcnt vmcnt(0)                                 // lgkmcnt=-1 vmcnt=0wait for global read before writing to local
_ds_store_b32 v[vgprLocalWriteAddrB], v[vgprG2LB+1] offset:272 // lwoB_0_0_1_0 = (0*LSCB)*(MT1J+PAD) + (1*LSPB) = 272
/* sched write - iter 14 writesPerItem=1 */
s_waitcnt vmcnt(0)                                 // lgkmcnt=-1 vmcnt=0wait for global read before writing to local
_ds_store_b32 v[vgprLocalWriteAddrB], v[vgprG2LB+2] offset:544 // lwoB_0_0_2_0 = (0*LSCB)*(MT1J+PAD) + (2*LSPB) = 544
/* sched write - iter 14 writesPerItem=1 */
s_waitcnt vmcnt(0)                                 // lgkmcnt=-1 vmcnt=0wait for global read before writing to local
_ds_store_b32 v[vgprLocalWriteAddrB], v[vgprG2LB+3] offset:816 // lwoB_0_0_3_0 = (0*LSCB)*(MT1J+PAD) + (3*LSPB) = 816
/* sched write - iter 14 writesPerItem=1 */
s_waitcnt vmcnt(0)                                 // lgkmcnt=-1 vmcnt=0wait for global read before writing to local
_ds_store_b32 v[vgprLocalWriteAddrB], v[vgprG2LB+4] offset:1088 // lwoB_0_0_4_0 = (0*LSCB)*(MT1J+PAD) + (4*LSPB) = 1088
/* sched write - iter 14 writesPerItem=1 */
s_waitcnt vmcnt(0)                                 // lgkmcnt=-1 vmcnt=0wait for global read before writing to local
_ds_store_b32 v[vgprLocalWriteAddrB], v[vgprG2LB+5] offset:1360 // lwoB_0_0_5_0 = (0*LSCB)*(MT1J+PAD) + (5*LSPB) = 1360
/* sched write - iter 14 writesPerItem=1 */
s_waitcnt vmcnt(0)                                 // lgkmcnt=-1 vmcnt=0wait for global read before writing to local
_ds_store_b32 v[vgprLocalWriteAddrB], v[vgprG2LB+6] offset:1632 // lwoB_0_0_6_0 = (0*LSCB)*(MT1J+PAD) + (6*LSPB) = 1632
/* sched write - iter 14 writesPerItem=1 */
s_waitcnt vmcnt(0)                                 // lgkmcnt=-1 vmcnt=0wait for global read before writing to local
_ds_store_b32 v[vgprLocalWriteAddrB], v[vgprG2LB+7] offset:1904 // lwoB_0_0_7_0 = (0*LSCB)*(MT1J+PAD) + (7*LSPB) = 1904

/* local write swap offsets a */

/* local write swap offsets b */

/* local read swap offsets a */

/* local read swap offsets b */

/* local read init pointers a */

/* localReadInitPointers */

/* local read init pointers b */

/* localReadInitPointers */
v_mfma_f32_32x32x4bf16 a[48+0:63+0], v[vgprValuA_X14_I0+6+0+0], v[vgprValuB_X14_I0+0+0+0], a[48:63]


/* iter 15 */

/*  grEndMfmaIndex:39, lwStartMfmaIndex:39, lwEndMfmaIndex:59  */
/*  numMfmaForLR:2, barrierMfmaIndex:61 */
/*  mfmaIndex:60  */
v_mfma_f32_32x32x4bf16 a[0+0:15+0], v[vgprValuA_X14_I0+0+1+0], v[vgprValuB_X14_I0+0+1+0], a[0:15]
/*  mfmaIndex:61  */
s_waitcnt lgkmcnt(0)                               // lgkmcnt=0 vmcnt=-13wait for local write
s_waitcnt lgkmcnt(0) & vmcnt(0)                    // force waitcnt0
s_barrier //
v_mfma_f32_32x32x4bf16 a[16+0:31+0], v[vgprValuA_X14_I0+2+1+0], v[vgprValuB_X14_I0+0+1+0], a[16:31]
/*  mfmaIndex:62  */
_ds_load_b64 v[vgprValuA_X0_I0+0:vgprValuA_X0_I0+0+1], v[vgprLocalReadAddrA] offset:0 // L -> Reg lro=0 swapByteOffset=0 ti=64 vIdx=0 rIdx=0 oIdx=0 buffer=0 iui=0
_ds_load_b64 v[vgprValuB_X0_I0+0:vgprValuB_X0_I0+0+1], v[vgprLocalReadAddrB] offset:0 // L -> Reg lro=0 swapByteOffset=0 ti=64 vIdx=0 rIdx=0 oIdx=0 buffer=0 iui=0
_ds_load_b64 v[vgprValuA_X0_I0+2:vgprValuA_X0_I0+2+1], v[vgprLocalReadAddrA] offset:8704 // L -> Reg lro=0 swapByteOffset=0 ti=64 vIdx=1 rIdx=0 oIdx=0 buffer=0 iui=0
_ds_load_b64 v[vgprValuA_X0_I0+4:vgprValuA_X0_I0+4+1], v[vgprLocalReadAddrA] offset:17408 // L -> Reg lro=0 swapByteOffset=0 ti=64 vIdx=2 rIdx=0 oIdx=0 buffer=0 iui=0
	;; [unrolled: 1-line block ×3, first 2 shown]
v_mfma_f32_32x32x4bf16 a[32+0:47+0], v[vgprValuA_X14_I0+4+1+0], v[vgprValuB_X14_I0+0+1+0], a[32:47]
/*  mfmaIndex:63  */
v_mfma_f32_32x32x4bf16 a[48+0:63+0], v[vgprValuA_X14_I0+6+1+0], v[vgprValuB_X14_I0+0+1+0], a[48:63]


/******************************************/
/* Unrolled Loop - End 1/2                */
/******************************************/


/* closeLoop loopL finalLoop=0 tailLoop=0 */
s_sub_u32 s[sgprLoopCounterL], s[sgprLoopCounterL], 1 // dec counterL
s_cmp_eq_i32 s[sgprLoopCounterL], 0x1              // counterL==1
s_cbranch_scc1 LoopEndL_oddexit_3                  // exit LoopL


/******************************************/
/* Unrolled Loop 2/2 - Begin              */
/******************************************/

label_0016: // LoopCopy2 


/* Begin Each Unroll: Check VGPR.checkin for INT8 LW */


	;; [unrolled: 1-line block ×3, first 2 shown]
/* iter 0 */

/*  grEndMfmaIndex:39, lwStartMfmaIndex:39, lwEndMfmaIndex:59  */
/*  numMfmaForLR:2, barrierMfmaIndex:61 */
/*  mfmaIndex:0  */
_buffer_load_b32 v[vgprG2LA+0], v[vgprGlobalReadOffsetA+0], s[sgprSrdA:sgprSrdA+3], 0, offen offset:0 // G -> Reg 0_0_0_0
s_waitcnt lgkmcnt(0)                               // lgkmcnt=0 vmcnt=-1wait for prior local read local write old=0, new=0 newLW=0 newLR=0
v_mfma_f32_32x32x4bf16 a[0+0:15+0], v[vgprValuA_X0_I0+0+0+0], v[vgprValuB_X0_I0+0+0+0], a[0:15]
/*  mfmaIndex:1  */
_ds_load_b64 v[vgprValuA_X2_I0+0:vgprValuA_X2_I0+0+1], v[vgprLocalReadAddrA] offset:16 // L -> Reg lro=8 swapByteOffset=0 ti=64 vIdx=0 rIdx=0 oIdx=0 buffer=2 iui=0
_ds_load_b64 v[vgprValuB_X2_I0+0:vgprValuB_X2_I0+0+1], v[vgprLocalReadAddrB] offset:16 // L -> Reg lro=8 swapByteOffset=0 ti=64 vIdx=0 rIdx=0 oIdx=0 buffer=2 iui=0
_ds_load_b64 v[vgprValuA_X2_I0+2:vgprValuA_X2_I0+2+1], v[vgprLocalReadAddrA] offset:8720 // L -> Reg lro=8 swapByteOffset=0 ti=64 vIdx=1 rIdx=0 oIdx=0 buffer=2 iui=0
_ds_load_b64 v[vgprValuA_X2_I0+4:vgprValuA_X2_I0+4+1], v[vgprLocalReadAddrA] offset:17424 // L -> Reg lro=8 swapByteOffset=0 ti=64 vIdx=2 rIdx=0 oIdx=0 buffer=2 iui=0
	;; [unrolled: 1-line block ×3, first 2 shown]
/* localReadsVacancy: latencyLeft 3 */
_ds_load_b64 v[vgprValuA_X4_I0+0:vgprValuA_X4_I0+0+1], v[vgprLocalReadAddrA] offset:32 // L -> Reg lro=16 swapByteOffset=0 ti=64 vIdx=0 rIdx=0 oIdx=0 buffer=4 iui=0
_buffer_load_b32 v[vgprG2LA+1], v[vgprGlobalReadOffsetA+1], s[sgprSrdA:sgprSrdA+3], 0, offen offset:0 // G -> Reg 0_0_1_0
v_mfma_f32_32x32x4bf16 a[16+0:31+0], v[vgprValuA_X0_I0+2+0+0], v[vgprValuB_X0_I0+0+0+0], a[16:31]
/*  mfmaIndex:2  */
/* localReadsVacancy: latencyLeft 13 */
_ds_load_b64 v[vgprValuB_X4_I0+0:vgprValuB_X4_I0+0+1], v[vgprLocalReadAddrB] offset:32 // L -> Reg lro=16 swapByteOffset=0 ti=64 vIdx=0 rIdx=0 oIdx=0 buffer=4 iui=0
_ds_load_b64 v[vgprValuA_X4_I0+2:vgprValuA_X4_I0+2+1], v[vgprLocalReadAddrA] offset:8736 // L -> Reg lro=16 swapByteOffset=0 ti=64 vIdx=1 rIdx=0 oIdx=0 buffer=4 iui=0
_ds_load_b64 v[vgprValuA_X4_I0+4:vgprValuA_X4_I0+4+1], v[vgprLocalReadAddrA] offset:17440 // L -> Reg lro=16 swapByteOffset=0 ti=64 vIdx=2 rIdx=0 oIdx=0 buffer=4 iui=0
	;; [unrolled: 1-line block ×3, first 2 shown]
_ds_load_b64 v[vgprValuA_X6_I0+0:vgprValuA_X6_I0+0+1], v[vgprLocalReadAddrA] offset:48 // L -> Reg lro=24 swapByteOffset=0 ti=64 vIdx=0 rIdx=0 oIdx=0 buffer=6 iui=0
_ds_load_b64 v[vgprValuB_X6_I0+0:vgprValuB_X6_I0+0+1], v[vgprLocalReadAddrB] offset:48 // L -> Reg lro=24 swapByteOffset=0 ti=64 vIdx=0 rIdx=0 oIdx=0 buffer=6 iui=0
_buffer_load_b32 v[vgprG2LA+2], v[vgprGlobalReadOffsetA+2], s[sgprSrdA:sgprSrdA+3], 0, offen offset:0 // G -> Reg 0_0_2_0
v_mfma_f32_32x32x4bf16 a[32+0:47+0], v[vgprValuA_X0_I0+4+0+0], v[vgprValuB_X0_I0+0+0+0], a[32:47]
/*  mfmaIndex:3  */
/* localReadsVacancy: latencyLeft 13 */
_ds_load_b64 v[vgprValuA_X6_I0+2:vgprValuA_X6_I0+2+1], v[vgprLocalReadAddrA] offset:8752 // L -> Reg lro=24 swapByteOffset=0 ti=64 vIdx=1 rIdx=0 oIdx=0 buffer=6 iui=0
_ds_load_b64 v[vgprValuA_X6_I0+4:vgprValuA_X6_I0+4+1], v[vgprLocalReadAddrA] offset:17456 // L -> Reg lro=24 swapByteOffset=0 ti=64 vIdx=2 rIdx=0 oIdx=0 buffer=6 iui=0
_ds_load_b64 v[vgprValuA_X6_I0+6:vgprValuA_X6_I0+6+1], v[vgprLocalReadAddrA] offset:26160 // L -> Reg lro=24 swapByteOffset=0 ti=64 vIdx=3 rIdx=0 oIdx=0 buffer=6 iui=0
_ds_load_b64 v[vgprValuA_X8_I0+0:vgprValuA_X8_I0+0+1], v[vgprLocalReadAddrA] offset:64 // L -> Reg lro=32 swapByteOffset=0 ti=64 vIdx=0 rIdx=0 oIdx=0 buffer=8 iui=0
_ds_load_b64 v[vgprValuB_X8_I0+0:vgprValuB_X8_I0+0+1], v[vgprLocalReadAddrB] offset:64 // L -> Reg lro=32 swapByteOffset=0 ti=64 vIdx=0 rIdx=0 oIdx=0 buffer=8 iui=0
_ds_load_b64 v[vgprValuA_X8_I0+2:vgprValuA_X8_I0+2+1], v[vgprLocalReadAddrA] offset:8768 // L -> Reg lro=32 swapByteOffset=0 ti=64 vIdx=1 rIdx=0 oIdx=0 buffer=8 iui=0
_buffer_load_b32 v[vgprG2LA+3], v[vgprGlobalReadOffsetA+3], s[sgprSrdA:sgprSrdA+3], 0, offen offset:0 // G -> Reg 0_0_3_0
v_mfma_f32_32x32x4bf16 a[48+0:63+0], v[vgprValuA_X0_I0+6+0+0], v[vgprValuB_X0_I0+0+0+0], a[48:63]
/* numPrefetchIter=0 */
/* dataAtIterA=-1 numReadsIterA=1 skipReadsIterA=1 readsPerIterA=4 */
/* dataAtIterB=-1 numReadsIterB=1 skipReadsIterB=1 readsPerIterB=1 */


/* iter 1 */

/*  grEndMfmaIndex:39, lwStartMfmaIndex:39, lwEndMfmaIndex:59  */
/*  numMfmaForLR:2, barrierMfmaIndex:61 */
/*  mfmaIndex:4  */
/* localReadsVacancy: latencyLeft 13 */
_ds_load_b64 v[vgprValuA_X8_I0+4:vgprValuA_X8_I0+4+1], v[vgprLocalReadAddrA] offset:17472 // L -> Reg lro=32 swapByteOffset=0 ti=64 vIdx=2 rIdx=0 oIdx=0 buffer=8 iui=0
_ds_load_b64 v[vgprValuA_X8_I0+6:vgprValuA_X8_I0+6+1], v[vgprLocalReadAddrA] offset:26176 // L -> Reg lro=32 swapByteOffset=0 ti=64 vIdx=3 rIdx=0 oIdx=0 buffer=8 iui=0
_ds_load_b64 v[vgprValuA_X10_I0+0:vgprValuA_X10_I0+0+1], v[vgprLocalReadAddrA] offset:80 // L -> Reg lro=40 swapByteOffset=0 ti=64 vIdx=0 rIdx=0 oIdx=0 buffer=10 iui=0
_ds_load_b64 v[vgprValuB_X10_I0+0:vgprValuB_X10_I0+0+1], v[vgprLocalReadAddrB] offset:80 // L -> Reg lro=40 swapByteOffset=0 ti=64 vIdx=0 rIdx=0 oIdx=0 buffer=10 iui=0
_ds_load_b64 v[vgprValuA_X10_I0+2:vgprValuA_X10_I0+2+1], v[vgprLocalReadAddrA] offset:8784 // L -> Reg lro=40 swapByteOffset=0 ti=64 vIdx=1 rIdx=0 oIdx=0 buffer=10 iui=0
_ds_load_b64 v[vgprValuA_X10_I0+4:vgprValuA_X10_I0+4+1], v[vgprLocalReadAddrA] offset:17488 // L -> Reg lro=40 swapByteOffset=0 ti=64 vIdx=2 rIdx=0 oIdx=0 buffer=10 iui=0
_buffer_load_b32 v[vgprG2LA+4], v[vgprGlobalReadOffsetA+4], s[sgprSrdA:sgprSrdA+3], 0, offen offset:0 // G -> Reg 0_0_4_0
s_waitcnt lgkmcnt(15)                              // lgkmcnt=0 vmcnt=-1wait for prior local read local write old=5, new=10 newLW=0 newLR=5
v_mfma_f32_32x32x4bf16 a[0+0:15+0], v[vgprValuA_X0_I0+0+1+0], v[vgprValuB_X0_I0+0+1+0], a[0:15]
/*  mfmaIndex:5  */
/* localReadsVacancy: latencyLeft 13 */
_ds_load_b64 v[vgprValuA_X10_I0+6:vgprValuA_X10_I0+6+1], v[vgprLocalReadAddrA] offset:26192 // L -> Reg lro=40 swapByteOffset=0 ti=64 vIdx=3 rIdx=0 oIdx=0 buffer=10 iui=0
_ds_load_b64 v[vgprValuA_X12_I0+0:vgprValuA_X12_I0+0+1], v[vgprLocalReadAddrA] offset:96 // L -> Reg lro=48 swapByteOffset=0 ti=64 vIdx=0 rIdx=0 oIdx=0 buffer=12 iui=0
_ds_load_b64 v[vgprValuB_X12_I0+0:vgprValuB_X12_I0+0+1], v[vgprLocalReadAddrB] offset:96 // L -> Reg lro=48 swapByteOffset=0 ti=64 vIdx=0 rIdx=0 oIdx=0 buffer=12 iui=0
_ds_load_b64 v[vgprValuA_X12_I0+2:vgprValuA_X12_I0+2+1], v[vgprLocalReadAddrA] offset:8800 // L -> Reg lro=48 swapByteOffset=0 ti=64 vIdx=1 rIdx=0 oIdx=0 buffer=12 iui=0
_ds_load_b64 v[vgprValuA_X12_I0+4:vgprValuA_X12_I0+4+1], v[vgprLocalReadAddrA] offset:17504 // L -> Reg lro=48 swapByteOffset=0 ti=64 vIdx=2 rIdx=0 oIdx=0 buffer=12 iui=0
	;; [unrolled: 1-line block ×3, first 2 shown]
_buffer_load_b32 v[vgprG2LA+5], v[vgprGlobalReadOffsetA+5], s[sgprSrdA:sgprSrdA+3], 0, offen offset:0 // G -> Reg 0_0_5_0
v_mfma_f32_32x32x4bf16 a[16+0:31+0], v[vgprValuA_X0_I0+2+1+0], v[vgprValuB_X0_I0+0+1+0], a[16:31]
/*  mfmaIndex:6  */
/* localReadsVacancy: latencyLeft 13 */
_ds_load_b64 v[vgprValuA_X14_I0+0:vgprValuA_X14_I0+0+1], v[vgprLocalReadAddrA] offset:112 // L -> Reg lro=56 swapByteOffset=0 ti=64 vIdx=0 rIdx=0 oIdx=0 buffer=14 iui=0
_ds_load_b64 v[vgprValuB_X14_I0+0:vgprValuB_X14_I0+0+1], v[vgprLocalReadAddrB] offset:112 // L -> Reg lro=56 swapByteOffset=0 ti=64 vIdx=0 rIdx=0 oIdx=0 buffer=14 iui=0
_ds_load_b64 v[vgprValuA_X14_I0+2:vgprValuA_X14_I0+2+1], v[vgprLocalReadAddrA] offset:8816 // L -> Reg lro=56 swapByteOffset=0 ti=64 vIdx=1 rIdx=0 oIdx=0 buffer=14 iui=0
_ds_load_b64 v[vgprValuA_X14_I0+4:vgprValuA_X14_I0+4+1], v[vgprLocalReadAddrA] offset:17520 // L -> Reg lro=56 swapByteOffset=0 ti=64 vIdx=2 rIdx=0 oIdx=0 buffer=14 iui=0
	;; [unrolled: 1-line block ×3, first 2 shown]
_buffer_load_b32 v[vgprG2LA+6], v[vgprGlobalReadOffsetA+6], s[sgprSrdA:sgprSrdA+3], 0, offen offset:0 // G -> Reg 0_0_6_0
v_mfma_f32_32x32x4bf16 a[32+0:47+0], v[vgprValuA_X0_I0+4+1+0], v[vgprValuB_X0_I0+0+1+0], a[32:47]
/*  mfmaIndex:7  */
/* localReadsVacancy: latencyLeft 13 */
_buffer_load_b32 v[vgprG2LA+7], v[vgprGlobalReadOffsetA+7], s[sgprSrdA:sgprSrdA+3], 0, offen offset:0 // G -> Reg 0_0_7_0
v_mfma_f32_32x32x4bf16 a[48+0:63+0], v[vgprValuA_X0_I0+6+1+0], v[vgprValuB_X0_I0+0+1+0], a[48:63]
/* numPrefetchIter=0 */
/* dataAtIterA=-1 numReadsIterA=2 skipReadsIterA=2 readsPerIterA=4 */
/* dataAtIterB=-1 numReadsIterB=2 skipReadsIterB=2 readsPerIterB=1 */


/* iter 2 */

/*  grEndMfmaIndex:39, lwStartMfmaIndex:39, lwEndMfmaIndex:59  */
/*  numMfmaForLR:2, barrierMfmaIndex:61 */
/*  mfmaIndex:8  */
/* localReadsVacancy: latencyLeft 13 */
_buffer_load_b32 v[vgprG2LA+8], v[vgprGlobalReadOffsetA+8], s[sgprSrdA:sgprSrdA+3], 0, offen offset:0 // G -> Reg 0_0_8_0
s_waitcnt lgkmcnt(15)                              // lgkmcnt=0 vmcnt=-1wait for prior local read local write old=0, new=5 newLW=0 newLR=5
v_mfma_f32_32x32x4bf16 a[0+0:15+0], v[vgprValuA_X2_I0+0+0+0], v[vgprValuB_X2_I0+0+0+0], a[0:15]
/*  mfmaIndex:9  */
/* localReadsVacancy: latencyLeft 13 */
_buffer_load_b32 v[vgprG2LA+9], v[vgprGlobalReadOffsetA+9], s[sgprSrdA:sgprSrdA+3], 0, offen offset:0 // G -> Reg 0_0_9_0
v_mfma_f32_32x32x4bf16 a[16+0:31+0], v[vgprValuA_X2_I0+2+0+0], v[vgprValuB_X2_I0+0+0+0], a[16:31]
/*  mfmaIndex:10  */
/* localReadsVacancy: latencyLeft 13 */
_buffer_load_b32 v[vgprG2LA+10], v[vgprGlobalReadOffsetA+10], s[sgprSrdA:sgprSrdA+3], 0, offen offset:0 // G -> Reg 0_0_10_0
v_mfma_f32_32x32x4bf16 a[32+0:47+0], v[vgprValuA_X2_I0+4+0+0], v[vgprValuB_X2_I0+0+0+0], a[32:47]
/*  mfmaIndex:11  */
/* localReadsVacancy: latencyLeft 13 */
_buffer_load_b32 v[vgprG2LA+11], v[vgprGlobalReadOffsetA+11], s[sgprSrdA:sgprSrdA+3], 0, offen offset:0 // G -> Reg 0_0_11_0
v_mfma_f32_32x32x4bf16 a[48+0:63+0], v[vgprValuA_X2_I0+6+0+0], v[vgprValuB_X2_I0+0+0+0], a[48:63]
/* numPrefetchIter=0 */
/* dataAtIterA=0 numReadsIterA=3 skipReadsIterA=2 readsPerIterA=4 */
/* dataAtIterB=0 numReadsIterB=3 skipReadsIterB=2 readsPerIterB=1 */


/* iter 3 */

/*  grEndMfmaIndex:39, lwStartMfmaIndex:39, lwEndMfmaIndex:59  */
/*  numMfmaForLR:2, barrierMfmaIndex:61 */
/*  mfmaIndex:12  */
/* localReadsVacancy: latencyLeft 13 */
_buffer_load_b32 v[vgprG2LA+12], v[vgprGlobalReadOffsetA+12], s[sgprSrdA:sgprSrdA+3], 0, offen offset:0 // G -> Reg 0_0_12_0
s_waitcnt lgkmcnt(15)                              // lgkmcnt=0 vmcnt=-1wait for prior local read local write old=2, new=12 newLW=0 newLR=10
v_mfma_f32_32x32x4bf16 a[0+0:15+0], v[vgprValuA_X2_I0+0+1+0], v[vgprValuB_X2_I0+0+1+0], a[0:15]
/*  mfmaIndex:13  */
/* localReadsVacancy: latencyLeft 13 */
_buffer_load_b32 v[vgprG2LA+13], v[vgprGlobalReadOffsetA+13], s[sgprSrdA:sgprSrdA+3], 0, offen offset:0 // G -> Reg 0_0_13_0
v_mfma_f32_32x32x4bf16 a[16+0:31+0], v[vgprValuA_X2_I0+2+1+0], v[vgprValuB_X2_I0+0+1+0], a[16:31]
/*  mfmaIndex:14  */
/* localReadsVacancy: latencyLeft 13 */
_buffer_load_b32 v[vgprG2LA+14], v[vgprGlobalReadOffsetA+14], s[sgprSrdA:sgprSrdA+3], 0, offen offset:0 // G -> Reg 0_0_14_0
v_mfma_f32_32x32x4bf16 a[32+0:47+0], v[vgprValuA_X2_I0+4+1+0], v[vgprValuB_X2_I0+0+1+0], a[32:47]
/*  mfmaIndex:15  */
/* localReadsVacancy: latencyLeft 13 */
_buffer_load_b32 v[vgprG2LA+15], v[vgprGlobalReadOffsetA+15], s[sgprSrdA:sgprSrdA+3], 0, offen offset:0 // G -> Reg 0_0_15_0
v_mfma_f32_32x32x4bf16 a[48+0:63+0], v[vgprValuA_X2_I0+6+1+0], v[vgprValuB_X2_I0+0+1+0], a[48:63]
/* numPrefetchIter=0 */
/* dataAtIterA=0 numReadsIterA=4 skipReadsIterA=3 readsPerIterA=4 */
/* dataAtIterB=0 numReadsIterB=4 skipReadsIterB=3 readsPerIterB=1 */


/* iter 4 */

/*  grEndMfmaIndex:39, lwStartMfmaIndex:39, lwEndMfmaIndex:59  */
/*  numMfmaForLR:2, barrierMfmaIndex:61 */
/*  mfmaIndex:16  */
/* localReadsVacancy: latencyLeft 13 */
_buffer_load_b32 v[vgprG2LA+16], v[vgprGlobalReadOffsetA+16], s[sgprSrdA:sgprSrdA+3], 0, offen offset:0 // G -> Reg 0_0_16_0
s_waitcnt lgkmcnt(15)                              // lgkmcnt=0 vmcnt=-1wait for prior local read local write old=5, new=15 newLW=0 newLR=10
v_mfma_f32_32x32x4bf16 a[0+0:15+0], v[vgprValuA_X4_I0+0+0+0], v[vgprValuB_X4_I0+0+0+0], a[0:15]
/*  mfmaIndex:17  */
/* localReadsVacancy: latencyLeft 13 */
_buffer_load_b32 v[vgprG2LA+17], v[vgprGlobalReadOffsetA+17], s[sgprSrdA:sgprSrdA+3], 0, offen offset:0 // G -> Reg 0_0_17_0
v_mfma_f32_32x32x4bf16 a[16+0:31+0], v[vgprValuA_X4_I0+2+0+0], v[vgprValuB_X4_I0+0+0+0], a[16:31]
/*  mfmaIndex:18  */
/* localReadsVacancy: latencyLeft 13 */
_buffer_load_b32 v[vgprG2LA+18], v[vgprGlobalReadOffsetA+18], s[sgprSrdA:sgprSrdA+3], 0, offen offset:0 // G -> Reg 0_0_18_0
v_mfma_f32_32x32x4bf16 a[32+0:47+0], v[vgprValuA_X4_I0+4+0+0], v[vgprValuB_X4_I0+0+0+0], a[32:47]
/*  mfmaIndex:19  */
/* localReadsVacancy: latencyLeft 13 */
_buffer_load_b32 v[vgprG2LA+19], v[vgprGlobalReadOffsetA+19], s[sgprSrdA:sgprSrdA+3], 0, offen offset:0 // G -> Reg 0_0_19_0
v_mfma_f32_32x32x4bf16 a[48+0:63+0], v[vgprValuA_X4_I0+6+0+0], v[vgprValuB_X4_I0+0+0+0], a[48:63]
/* numPrefetchIter=0 */
/* dataAtIterA=1 numReadsIterA=5 skipReadsIterA=3 readsPerIterA=4 */
/* dataAtIterB=1 numReadsIterB=5 skipReadsIterB=3 readsPerIterB=1 */


/* iter 5 */

/*  grEndMfmaIndex:39, lwStartMfmaIndex:39, lwEndMfmaIndex:59  */
/*  numMfmaForLR:2, barrierMfmaIndex:61 */
/*  mfmaIndex:20  */
/* localReadsVacancy: latencyLeft 13 */
_buffer_load_b32 v[vgprG2LA+20], v[vgprGlobalReadOffsetA+20], s[sgprSrdA:sgprSrdA+3], 0, offen offset:0 // G -> Reg 0_0_20_0
s_waitcnt lgkmcnt(15)                              // lgkmcnt=0 vmcnt=-1wait for prior local read local write old=5, new=20 newLW=0 newLR=15
v_mfma_f32_32x32x4bf16 a[0+0:15+0], v[vgprValuA_X4_I0+0+1+0], v[vgprValuB_X4_I0+0+1+0], a[0:15]
/*  mfmaIndex:21  */
/* localReadsVacancy: latencyLeft 13 */
_buffer_load_b32 v[vgprG2LA+21], v[vgprGlobalReadOffsetA+21], s[sgprSrdA:sgprSrdA+3], 0, offen offset:0 // G -> Reg 0_0_21_0
v_mfma_f32_32x32x4bf16 a[16+0:31+0], v[vgprValuA_X4_I0+2+1+0], v[vgprValuB_X4_I0+0+1+0], a[16:31]
/*  mfmaIndex:22  */
/* localReadsVacancy: latencyLeft 13 */
_buffer_load_b32 v[vgprG2LA+22], v[vgprGlobalReadOffsetA+22], s[sgprSrdA:sgprSrdA+3], 0, offen offset:0 // G -> Reg 0_0_22_0
v_mfma_f32_32x32x4bf16 a[32+0:47+0], v[vgprValuA_X4_I0+4+1+0], v[vgprValuB_X4_I0+0+1+0], a[32:47]
/*  mfmaIndex:23  */
/* localReadsVacancy: latencyLeft 13 */
_buffer_load_b32 v[vgprG2LA+23], v[vgprGlobalReadOffsetA+23], s[sgprSrdA:sgprSrdA+3], 0, offen offset:0 // G -> Reg 0_0_23_0
v_mfma_f32_32x32x4bf16 a[48+0:63+0], v[vgprValuA_X4_I0+6+1+0], v[vgprValuB_X4_I0+0+1+0], a[48:63]
/* numPrefetchIter=0 */
/* dataAtIterA=1 numReadsIterA=6 skipReadsIterA=4 readsPerIterA=4 */
/* dataAtIterB=1 numReadsIterB=6 skipReadsIterB=4 readsPerIterB=1 */


/* iter 6 */

/*  grEndMfmaIndex:39, lwStartMfmaIndex:39, lwEndMfmaIndex:59  */
/*  numMfmaForLR:2, barrierMfmaIndex:61 */
/*  mfmaIndex:24  */
/* localReadsVacancy: latencyLeft 13 */
_buffer_load_b32 v[vgprG2LA+24], v[vgprGlobalReadOffsetA+24], s[sgprSrdA:sgprSrdA+3], 0, offen offset:0 // G -> Reg 0_0_24_0
s_waitcnt lgkmcnt(15)                              // lgkmcnt=0 vmcnt=-1wait for prior local read local write old=5, new=20 newLW=0 newLR=15
v_mfma_f32_32x32x4bf16 a[0+0:15+0], v[vgprValuA_X6_I0+0+0+0], v[vgprValuB_X6_I0+0+0+0], a[0:15]
/*  mfmaIndex:25  */
/* localReadsVacancy: latencyLeft 13 */
_buffer_load_b32 v[vgprG2LA+25], v[vgprGlobalReadOffsetA+25], s[sgprSrdA:sgprSrdA+3], 0, offen offset:0 // G -> Reg 0_0_25_0
v_mfma_f32_32x32x4bf16 a[16+0:31+0], v[vgprValuA_X6_I0+2+0+0], v[vgprValuB_X6_I0+0+0+0], a[16:31]
/*  mfmaIndex:26  */
/* localReadsVacancy: latencyLeft 13 */
_buffer_load_b32 v[vgprG2LA+26], v[vgprGlobalReadOffsetA+26], s[sgprSrdA:sgprSrdA+3], 0, offen offset:0 // G -> Reg 0_0_26_0
v_mfma_f32_32x32x4bf16 a[32+0:47+0], v[vgprValuA_X6_I0+4+0+0], v[vgprValuB_X6_I0+0+0+0], a[32:47]
/*  mfmaIndex:27  */
/* localReadsVacancy: latencyLeft 13 */
_buffer_load_b32 v[vgprG2LA+27], v[vgprGlobalReadOffsetA+27], s[sgprSrdA:sgprSrdA+3], 0, offen offset:0 // G -> Reg 0_0_27_0
v_mfma_f32_32x32x4bf16 a[48+0:63+0], v[vgprValuA_X6_I0+6+0+0], v[vgprValuB_X6_I0+0+0+0], a[48:63]
/* numPrefetchIter=0 */
/* dataAtIterA=2 numReadsIterA=7 skipReadsIterA=4 readsPerIterA=4 */
/* dataAtIterB=2 numReadsIterB=7 skipReadsIterB=4 readsPerIterB=1 */


/* iter 7 */

/*  grEndMfmaIndex:39, lwStartMfmaIndex:39, lwEndMfmaIndex:59  */
/*  numMfmaForLR:2, barrierMfmaIndex:61 */
/*  mfmaIndex:28  */
/* localReadsVacancy: latencyLeft 13 */
_buffer_load_b32 v[vgprG2LA+28], v[vgprGlobalReadOffsetA+28], s[sgprSrdA:sgprSrdA+3], 0, offen offset:0 // G -> Reg 0_0_28_0
s_waitcnt lgkmcnt(15)                              // lgkmcnt=0 vmcnt=-1wait for prior local read local write old=0, new=20 newLW=0 newLR=20
v_mfma_f32_32x32x4bf16 a[0+0:15+0], v[vgprValuA_X6_I0+0+1+0], v[vgprValuB_X6_I0+0+1+0], a[0:15]
/*  mfmaIndex:29  */
/* localReadsVacancy: latencyLeft 13 */
_buffer_load_b32 v[vgprG2LA+29], v[vgprGlobalReadOffsetA+29], s[sgprSrdA:sgprSrdA+3], 0, offen offset:0 // G -> Reg 0_0_29_0
v_mfma_f32_32x32x4bf16 a[16+0:31+0], v[vgprValuA_X6_I0+2+1+0], v[vgprValuB_X6_I0+0+1+0], a[16:31]
/*  mfmaIndex:30  */
/* localReadsVacancy: latencyLeft 13 */
_buffer_load_b32 v[vgprG2LA+30], v[vgprGlobalReadOffsetA+30], s[sgprSrdA:sgprSrdA+3], 0, offen offset:0 // G -> Reg 0_0_30_0
v_mfma_f32_32x32x4bf16 a[32+0:47+0], v[vgprValuA_X6_I0+4+1+0], v[vgprValuB_X6_I0+0+1+0], a[32:47]
/*  mfmaIndex:31  */
/* localReadsVacancy: latencyLeft 13 */
_buffer_load_b32 v[vgprG2LA+31], v[vgprGlobalReadOffsetA+31], s[sgprSrdA:sgprSrdA+3], 0, offen offset:0 // G -> Reg 0_0_31_0
v_mfma_f32_32x32x4bf16 a[48+0:63+0], v[vgprValuA_X6_I0+6+1+0], v[vgprValuB_X6_I0+0+1+0], a[48:63]
/* numPrefetchIter=0 */
/* dataAtIterA=2 numReadsIterA=7 skipReadsIterA=4 readsPerIterA=4 */
/* dataAtIterB=2 numReadsIterB=7 skipReadsIterB=4 readsPerIterB=1 */


/* iter 8 */

/*  grEndMfmaIndex:39, lwStartMfmaIndex:39, lwEndMfmaIndex:59  */
/*  numMfmaForLR:2, barrierMfmaIndex:61 */
/*  mfmaIndex:32  */
/* localReadsVacancy: latencyLeft 13 */
_buffer_load_b32 v[vgprG2LB+0], v[vgprGlobalReadOffsetB+0], s[sgprSrdB:sgprSrdB+3], 0, offen offset:0 // G -> Reg 0_0_0_0
s_waitcnt lgkmcnt(15)                              // lgkmcnt=0 vmcnt=-1wait for prior local read local write old=0, new=15 newLW=0 newLR=15
v_mfma_f32_32x32x4bf16 a[0+0:15+0], v[vgprValuA_X8_I0+0+0+0], v[vgprValuB_X8_I0+0+0+0], a[0:15]
/*  mfmaIndex:33  */
/* localReadsVacancy: latencyLeft 13 */
_buffer_load_b32 v[vgprG2LB+1], v[vgprGlobalReadOffsetB+1], s[sgprSrdB:sgprSrdB+3], 0, offen offset:0 // G -> Reg 0_0_1_0
v_mfma_f32_32x32x4bf16 a[16+0:31+0], v[vgprValuA_X8_I0+2+0+0], v[vgprValuB_X8_I0+0+0+0], a[16:31]
/*  mfmaIndex:34  */
/* localReadsVacancy: latencyLeft 13 */
_buffer_load_b32 v[vgprG2LB+2], v[vgprGlobalReadOffsetB+2], s[sgprSrdB:sgprSrdB+3], 0, offen offset:0 // G -> Reg 0_0_2_0
v_mfma_f32_32x32x4bf16 a[32+0:47+0], v[vgprValuA_X8_I0+4+0+0], v[vgprValuB_X8_I0+0+0+0], a[32:47]
/*  mfmaIndex:35  */
/* localReadsVacancy: latencyLeft 13 */
_buffer_load_b32 v[vgprG2LB+3], v[vgprGlobalReadOffsetB+3], s[sgprSrdB:sgprSrdB+3], 0, offen offset:0 // G -> Reg 0_0_3_0
v_mfma_f32_32x32x4bf16 a[48+0:63+0], v[vgprValuA_X8_I0+6+0+0], v[vgprValuB_X8_I0+0+0+0], a[48:63]
/* numPrefetchIter=0 */
/* dataAtIterA=3 numReadsIterA=7 skipReadsIterA=3 readsPerIterA=4 */
/* dataAtIterB=3 numReadsIterB=7 skipReadsIterB=3 readsPerIterB=1 */


/* iter 9 */

/*  grEndMfmaIndex:39, lwStartMfmaIndex:39, lwEndMfmaIndex:59  */
/*  numMfmaForLR:2, barrierMfmaIndex:61 */
/*  mfmaIndex:36  */
/* localReadsVacancy: latencyLeft 13 */
_buffer_load_b32 v[vgprG2LB+4], v[vgprGlobalReadOffsetB+4], s[sgprSrdB:sgprSrdB+3], 0, offen offset:0 // G -> Reg 0_0_4_0
s_waitcnt lgkmcnt(15)                              // lgkmcnt=0 vmcnt=-1wait for prior local read local write old=0, new=15 newLW=0 newLR=15
v_mfma_f32_32x32x4bf16 a[0+0:15+0], v[vgprValuA_X8_I0+0+1+0], v[vgprValuB_X8_I0+0+1+0], a[0:15]
/*  mfmaIndex:37  */
/* localReadsVacancy: latencyLeft 13 */
_buffer_load_b32 v[vgprG2LB+5], v[vgprGlobalReadOffsetB+5], s[sgprSrdB:sgprSrdB+3], 0, offen offset:0 // G -> Reg 0_0_5_0
v_mfma_f32_32x32x4bf16 a[16+0:31+0], v[vgprValuA_X8_I0+2+1+0], v[vgprValuB_X8_I0+0+1+0], a[16:31]
/*  mfmaIndex:38  */
/* localReadsVacancy: latencyLeft 13 */
_buffer_load_b32 v[vgprG2LB+6], v[vgprGlobalReadOffsetB+6], s[sgprSrdB:sgprSrdB+3], 0, offen offset:0 // G -> Reg 0_0_6_0
/* 1 LDS buffer: read-sync-write */
s_waitcnt lgkmcnt(0)                               // 
s_barrier                                          // 
v_mfma_f32_32x32x4bf16 a[32+0:47+0], v[vgprValuA_X8_I0+4+1+0], v[vgprValuB_X8_I0+0+1+0], a[32:47]
/*  mfmaIndex:39  */
/* localReadsVacancy: latencyLeft 13 */
_buffer_load_b32 v[vgprG2LB+7], v[vgprGlobalReadOffsetB+7], s[sgprSrdB:sgprSrdB+3], 0, offen offset:0 // G -> Reg 0_0_7_0
/* sched write - iter 9 writesPerItem=1 */
s_waitcnt vmcnt(0)                                 // lgkmcnt=-1 vmcnt=0wait for global read before writing to local
_ds_store_b32 v[vgprLocalWriteAddrA], v[vgprG2LA+0] offset:0 // lwoA_0_0_0_0 = (0*LSCA)*(MT0I+PAD) + (0*LSPA) = 0
v_mfma_f32_32x32x4bf16 a[48+0:63+0], v[vgprValuA_X8_I0+6+1+0], v[vgprValuB_X8_I0+0+1+0], a[48:63]
/* numPrefetchIter=0 */
/* dataAtIterA=3 numReadsIterA=7 skipReadsIterA=3 readsPerIterA=4 */
/* dataAtIterB=3 numReadsIterB=7 skipReadsIterB=3 readsPerIterB=1 */


/* iter 10 */

/*  grEndMfmaIndex:39, lwStartMfmaIndex:39, lwEndMfmaIndex:59  */
/*  numMfmaForLR:2, barrierMfmaIndex:61 */
/*  mfmaIndex:40  */

/* global read inc A loopL */
s_add_u32 s[sgprSrdA+0], s[sgprSrdA+0], s[sgprGlobalReadIncsA+0] // gra SRD += inc(lower)
s_addc_u32  s[sgprSrdA+1], s[sgprSrdA+1], 0        // gra SRD += inc(upper)
s_sub_u32 s[sgprShadowLimitA+0], s[sgprShadowLimitA+0], s[sgprGlobalReadIncsA+0] // limit -= inc)
s_subb_u32 s[sgprShadowLimitA+1], s[sgprShadowLimitA+1], 0 // limit -= inc)
s_cmp_eq_u32 s[sgprShadowLimitA+1], 0              // are we within 2^32?
s_cmov_b32 s[sgprSrdA+2], s[sgprShadowLimitA+0]    // Move shadow to real if we are within 2^32

/* global read inc B loopL */
s_add_u32 s[sgprSrdB+0], s[sgprSrdB+0], s[sgprGlobalReadIncsB+0] // gra SRD += inc(lower)
/* sched write - iter 10 writesPerItem=1 */
s_waitcnt vmcnt(0)                                 // lgkmcnt=-1 vmcnt=0wait for global read before writing to local
_ds_store_b32 v[vgprLocalWriteAddrA], v[vgprG2LA+1] offset:272 // lwoA_0_0_1_0 = (0*LSCA)*(MT0I+PAD) + (1*LSPA) = 272
v_mfma_f32_32x32x4bf16 a[0+0:15+0], v[vgprValuA_X10_I0+0+0+0], v[vgprValuB_X10_I0+0+0+0], a[0:15]
/*  mfmaIndex:41  */
s_addc_u32  s[sgprSrdB+1], s[sgprSrdB+1], 0        // gra SRD += inc(upper)
s_sub_u32 s[sgprShadowLimitB+0], s[sgprShadowLimitB+0], s[sgprGlobalReadIncsB+0] // limit -= inc)
s_subb_u32 s[sgprShadowLimitB+1], s[sgprShadowLimitB+1], 0 // limit -= inc)
s_cmp_eq_u32 s[sgprShadowLimitB+1], 0              // are we within 2^32?
s_cmov_b32 s[sgprSrdB+2], s[sgprShadowLimitB+0]    // Move shadow to real if we are within 2^32
/* sched write - iter 10 writesPerItem=1 */
s_waitcnt vmcnt(0)                                 // lgkmcnt=-1 vmcnt=0wait for global read before writing to local
_ds_store_b32 v[vgprLocalWriteAddrA], v[vgprG2LA+2] offset:544 // lwoA_0_0_2_0 = (0*LSCA)*(MT0I+PAD) + (2*LSPA) = 544
v_mfma_f32_32x32x4bf16 a[16+0:31+0], v[vgprValuA_X10_I0+2+0+0], v[vgprValuB_X10_I0+0+0+0], a[16:31]
/*  mfmaIndex:42  */
/* sched write - iter 10 writesPerItem=1 */
s_waitcnt vmcnt(0)                                 // lgkmcnt=-1 vmcnt=0wait for global read before writing to local
_ds_store_b32 v[vgprLocalWriteAddrA], v[vgprG2LA+3] offset:816 // lwoA_0_0_3_0 = (0*LSCA)*(MT0I+PAD) + (3*LSPA) = 816
v_mfma_f32_32x32x4bf16 a[32+0:47+0], v[vgprValuA_X10_I0+4+0+0], v[vgprValuB_X10_I0+0+0+0], a[32:47]
/*  mfmaIndex:43  */
/* sched write - iter 10 writesPerItem=1 */
s_waitcnt vmcnt(0)                                 // lgkmcnt=-1 vmcnt=0wait for global read before writing to local
_ds_store_b32 v[vgprLocalWriteAddrA], v[vgprG2LA+4] offset:1088 // lwoA_0_0_4_0 = (0*LSCA)*(MT0I+PAD) + (4*LSPA) = 1088
v_mfma_f32_32x32x4bf16 a[48+0:63+0], v[vgprValuA_X10_I0+6+0+0], v[vgprValuB_X10_I0+0+0+0], a[48:63]


/* iter 11 */

/*  grEndMfmaIndex:39, lwStartMfmaIndex:39, lwEndMfmaIndex:59  */
/*  numMfmaForLR:2, barrierMfmaIndex:61 */
/*  mfmaIndex:44  */
/* sched write - iter 11 writesPerItem=1 */
s_waitcnt vmcnt(0)                                 // lgkmcnt=-1 vmcnt=0wait for global read before writing to local
_ds_store_b32 v[vgprLocalWriteAddrA], v[vgprG2LA+5] offset:1360 // lwoA_0_0_5_0 = (0*LSCA)*(MT0I+PAD) + (5*LSPA) = 1360
v_mfma_f32_32x32x4bf16 a[0+0:15+0], v[vgprValuA_X10_I0+0+1+0], v[vgprValuB_X10_I0+0+1+0], a[0:15]
/*  mfmaIndex:45  */
/* sched write - iter 11 writesPerItem=1 */
s_waitcnt vmcnt(0)                                 // lgkmcnt=-1 vmcnt=0wait for global read before writing to local
_ds_store_b32 v[vgprLocalWriteAddrA], v[vgprG2LA+6] offset:1632 // lwoA_0_0_6_0 = (0*LSCA)*(MT0I+PAD) + (6*LSPA) = 1632
v_mfma_f32_32x32x4bf16 a[16+0:31+0], v[vgprValuA_X10_I0+2+1+0], v[vgprValuB_X10_I0+0+1+0], a[16:31]
/*  mfmaIndex:46  */
/* sched write - iter 11 writesPerItem=1 */
s_waitcnt vmcnt(0)                                 // lgkmcnt=-1 vmcnt=0wait for global read before writing to local
_ds_store_b32 v[vgprLocalWriteAddrA], v[vgprG2LA+7] offset:1904 // lwoA_0_0_7_0 = (0*LSCA)*(MT0I+PAD) + (7*LSPA) = 1904
v_mfma_f32_32x32x4bf16 a[32+0:47+0], v[vgprValuA_X10_I0+4+1+0], v[vgprValuB_X10_I0+0+1+0], a[32:47]
/*  mfmaIndex:47  */
/* sched write - iter 11 writesPerItem=1 */
s_waitcnt vmcnt(0)                                 // lgkmcnt=-1 vmcnt=0wait for global read before writing to local
_ds_store_b32 v[vgprLocalWriteAddrA], v[vgprG2LA+8] offset:2176 // lwoA_0_0_8_0 = (0*LSCA)*(MT0I+PAD) + (8*LSPA) = 2176
v_mfma_f32_32x32x4bf16 a[48+0:63+0], v[vgprValuA_X10_I0+6+1+0], v[vgprValuB_X10_I0+0+1+0], a[48:63]


/* iter 12 */

/*  grEndMfmaIndex:39, lwStartMfmaIndex:39, lwEndMfmaIndex:59  */
/*  numMfmaForLR:2, barrierMfmaIndex:61 */
/*  mfmaIndex:48  */
/* sched write - iter 12 writesPerItem=1 */
s_waitcnt vmcnt(0)                                 // lgkmcnt=-1 vmcnt=0wait for global read before writing to local
_ds_store_b32 v[vgprLocalWriteAddrA], v[vgprG2LA+9] offset:2448 // lwoA_0_0_9_0 = (0*LSCA)*(MT0I+PAD) + (9*LSPA) = 2448
v_mfma_f32_32x32x4bf16 a[0+0:15+0], v[vgprValuA_X12_I0+0+0+0], v[vgprValuB_X12_I0+0+0+0], a[0:15]
/*  mfmaIndex:49  */
/* sched write - iter 12 writesPerItem=1 */
s_waitcnt vmcnt(0)                                 // lgkmcnt=-1 vmcnt=0wait for global read before writing to local
_ds_store_b32 v[vgprLocalWriteAddrA], v[vgprG2LA+10] offset:2720 // lwoA_0_0_10_0 = (0*LSCA)*(MT0I+PAD) + (10*LSPA) = 2720
v_mfma_f32_32x32x4bf16 a[16+0:31+0], v[vgprValuA_X12_I0+2+0+0], v[vgprValuB_X12_I0+0+0+0], a[16:31]
/*  mfmaIndex:50  */
/* sched write - iter 12 writesPerItem=1 */
s_waitcnt vmcnt(0)                                 // lgkmcnt=-1 vmcnt=0wait for global read before writing to local
_ds_store_b32 v[vgprLocalWriteAddrA], v[vgprG2LA+11] offset:2992 // lwoA_0_0_11_0 = (0*LSCA)*(MT0I+PAD) + (11*LSPA) = 2992
v_mfma_f32_32x32x4bf16 a[32+0:47+0], v[vgprValuA_X12_I0+4+0+0], v[vgprValuB_X12_I0+0+0+0], a[32:47]
/*  mfmaIndex:51  */
/* sched write - iter 12 writesPerItem=1 */
s_waitcnt vmcnt(0)                                 // lgkmcnt=-1 vmcnt=0wait for global read before writing to local
_ds_store_b32 v[vgprLocalWriteAddrA], v[vgprG2LA+12] offset:3264 // lwoA_0_0_12_0 = (0*LSCA)*(MT0I+PAD) + (12*LSPA) = 3264
v_mfma_f32_32x32x4bf16 a[48+0:63+0], v[vgprValuA_X12_I0+6+0+0], v[vgprValuB_X12_I0+0+0+0], a[48:63]


/* iter 13 */

/*  grEndMfmaIndex:39, lwStartMfmaIndex:39, lwEndMfmaIndex:59  */
/*  numMfmaForLR:2, barrierMfmaIndex:61 */
/*  mfmaIndex:52  */
/* sched write - iter 13 writesPerItem=1 */
s_waitcnt vmcnt(0)                                 // lgkmcnt=-1 vmcnt=0wait for global read before writing to local
_ds_store_b32 v[vgprLocalWriteAddrA], v[vgprG2LA+13] offset:3536 // lwoA_0_0_13_0 = (0*LSCA)*(MT0I+PAD) + (13*LSPA) = 3536
v_mfma_f32_32x32x4bf16 a[0+0:15+0], v[vgprValuA_X12_I0+0+1+0], v[vgprValuB_X12_I0+0+1+0], a[0:15]
/*  mfmaIndex:53  */
/* sched write - iter 13 writesPerItem=1 */
s_waitcnt vmcnt(0)                                 // lgkmcnt=-1 vmcnt=0wait for global read before writing to local
_ds_store_b32 v[vgprLocalWriteAddrA], v[vgprG2LA+14] offset:3808 // lwoA_0_0_14_0 = (0*LSCA)*(MT0I+PAD) + (14*LSPA) = 3808
v_mfma_f32_32x32x4bf16 a[16+0:31+0], v[vgprValuA_X12_I0+2+1+0], v[vgprValuB_X12_I0+0+1+0], a[16:31]
/*  mfmaIndex:54  */
/* sched write - iter 13 writesPerItem=1 */
s_waitcnt vmcnt(0)                                 // lgkmcnt=-1 vmcnt=0wait for global read before writing to local
_ds_store_b32 v[vgprLocalWriteAddrA], v[vgprG2LA+15] offset:4080 // lwoA_0_0_15_0 = (0*LSCA)*(MT0I+PAD) + (15*LSPA) = 4080
v_mfma_f32_32x32x4bf16 a[32+0:47+0], v[vgprValuA_X12_I0+4+1+0], v[vgprValuB_X12_I0+0+1+0], a[32:47]
/*  mfmaIndex:55  */
/* sched write - iter 13 writesPerItem=1 */
s_waitcnt vmcnt(0)                                 // lgkmcnt=-1 vmcnt=0wait for global read before writing to local
_ds_store_b32 v[vgprLocalWriteAddrA], v[vgprG2LA+16] offset:4352 // lwoA_0_0_16_0 = (0*LSCA)*(MT0I+PAD) + (16*LSPA) = 4352
v_mfma_f32_32x32x4bf16 a[48+0:63+0], v[vgprValuA_X12_I0+6+1+0], v[vgprValuB_X12_I0+0+1+0], a[48:63]


/* iter 14 (reset local read pointers iteration)  (swap and reset local write pointers iteration)  (swap local read pointers iteration)  */

/*  grEndMfmaIndex:39, lwStartMfmaIndex:39, lwEndMfmaIndex:59  */
/*  numMfmaForLR:2, barrierMfmaIndex:61 */
/*  mfmaIndex:56  */
/* sched write - iter 14 writesPerItem=1 */
s_waitcnt vmcnt(0)                                 // lgkmcnt=-1 vmcnt=0wait for global read before writing to local
_ds_store_b32 v[vgprLocalWriteAddrA], v[vgprG2LA+17] offset:4624 // lwoA_0_0_17_0 = (0*LSCA)*(MT0I+PAD) + (17*LSPA) = 4624
v_mfma_f32_32x32x4bf16 a[0+0:15+0], v[vgprValuA_X14_I0+0+0+0], v[vgprValuB_X14_I0+0+0+0], a[0:15]
/*  mfmaIndex:57  */
/* sched write - iter 14 writesPerItem=1 */
s_waitcnt vmcnt(0)                                 // lgkmcnt=-1 vmcnt=0wait for global read before writing to local
_ds_store_b32 v[vgprLocalWriteAddrA], v[vgprG2LA+18] offset:4896 // lwoA_0_0_18_0 = (0*LSCA)*(MT0I+PAD) + (18*LSPA) = 4896
v_mfma_f32_32x32x4bf16 a[16+0:31+0], v[vgprValuA_X14_I0+2+0+0], v[vgprValuB_X14_I0+0+0+0], a[16:31]
/*  mfmaIndex:58  */
/* sched write - iter 14 writesPerItem=1 */
s_waitcnt vmcnt(0)                                 // lgkmcnt=-1 vmcnt=0wait for global read before writing to local
_ds_store_b32 v[vgprLocalWriteAddrA], v[vgprG2LA+19] offset:5168 // lwoA_0_0_19_0 = (0*LSCA)*(MT0I+PAD) + (19*LSPA) = 5168
v_mfma_f32_32x32x4bf16 a[32+0:47+0], v[vgprValuA_X14_I0+4+0+0], v[vgprValuB_X14_I0+0+0+0], a[32:47]
/*  mfmaIndex:59  */
/* sched write - iter 14 writesPerItem=1 */
s_waitcnt vmcnt(0)                                 // lgkmcnt=-1 vmcnt=0wait for global read before writing to local
_ds_store_b32 v[vgprLocalWriteAddrA], v[vgprG2LA+20] offset:5440 // lwoA_0_0_20_0 = (0*LSCA)*(MT0I+PAD) + (20*LSPA) = 5440
/* sched write - iter 14 writesPerItem=1 */
s_waitcnt vmcnt(0)                                 // lgkmcnt=-1 vmcnt=0wait for global read before writing to local
_ds_store_b32 v[vgprLocalWriteAddrA], v[vgprG2LA+21] offset:5712 // lwoA_0_0_21_0 = (0*LSCA)*(MT0I+PAD) + (21*LSPA) = 5712
/* sched write - iter 14 writesPerItem=1 */
s_waitcnt vmcnt(0)                                 // lgkmcnt=-1 vmcnt=0wait for global read before writing to local
_ds_store_b32 v[vgprLocalWriteAddrA], v[vgprG2LA+22] offset:5984 // lwoA_0_0_22_0 = (0*LSCA)*(MT0I+PAD) + (22*LSPA) = 5984
/* sched write - iter 14 writesPerItem=1 */
s_waitcnt vmcnt(0)                                 // lgkmcnt=-1 vmcnt=0wait for global read before writing to local
_ds_store_b32 v[vgprLocalWriteAddrA], v[vgprG2LA+23] offset:6256 // lwoA_0_0_23_0 = (0*LSCA)*(MT0I+PAD) + (23*LSPA) = 6256
/* sched write - iter 14 writesPerItem=1 */
s_waitcnt vmcnt(0)                                 // lgkmcnt=-1 vmcnt=0wait for global read before writing to local
_ds_store_b32 v[vgprLocalWriteAddrA], v[vgprG2LA+24] offset:6528 // lwoA_0_0_24_0 = (0*LSCA)*(MT0I+PAD) + (24*LSPA) = 6528
/* sched write - iter 14 writesPerItem=1 */
s_waitcnt vmcnt(0)                                 // lgkmcnt=-1 vmcnt=0wait for global read before writing to local
_ds_store_b32 v[vgprLocalWriteAddrA], v[vgprG2LA+25] offset:6800 // lwoA_0_0_25_0 = (0*LSCA)*(MT0I+PAD) + (25*LSPA) = 6800
/* sched write - iter 14 writesPerItem=1 */
s_waitcnt vmcnt(0)                                 // lgkmcnt=-1 vmcnt=0wait for global read before writing to local
_ds_store_b32 v[vgprLocalWriteAddrA], v[vgprG2LA+26] offset:7072 // lwoA_0_0_26_0 = (0*LSCA)*(MT0I+PAD) + (26*LSPA) = 7072
/* sched write - iter 14 writesPerItem=1 */
s_waitcnt vmcnt(0)                                 // lgkmcnt=-1 vmcnt=0wait for global read before writing to local
_ds_store_b32 v[vgprLocalWriteAddrA], v[vgprG2LA+27] offset:7344 // lwoA_0_0_27_0 = (0*LSCA)*(MT0I+PAD) + (27*LSPA) = 7344
/* sched write - iter 14 writesPerItem=1 */
s_waitcnt vmcnt(0)                                 // lgkmcnt=-1 vmcnt=0wait for global read before writing to local
_ds_store_b32 v[vgprLocalWriteAddrA], v[vgprG2LA+28] offset:7616 // lwoA_0_0_28_0 = (0*LSCA)*(MT0I+PAD) + (28*LSPA) = 7616
/* sched write - iter 14 writesPerItem=1 */
s_waitcnt vmcnt(0)                                 // lgkmcnt=-1 vmcnt=0wait for global read before writing to local
_ds_store_b32 v[vgprLocalWriteAddrA], v[vgprG2LA+29] offset:7888 // lwoA_0_0_29_0 = (0*LSCA)*(MT0I+PAD) + (29*LSPA) = 7888
/* sched write - iter 14 writesPerItem=1 */
s_waitcnt vmcnt(0)                                 // lgkmcnt=-1 vmcnt=0wait for global read before writing to local
_ds_store_b32 v[vgprLocalWriteAddrA], v[vgprG2LA+30] offset:8160 // lwoA_0_0_30_0 = (0*LSCA)*(MT0I+PAD) + (30*LSPA) = 8160
/* sched write - iter 14 writesPerItem=1 */
s_waitcnt vmcnt(0)                                 // lgkmcnt=-1 vmcnt=0wait for global read before writing to local
_ds_store_b32 v[vgprLocalWriteAddrA], v[vgprG2LA+31] offset:8432 // lwoA_0_0_31_0 = (0*LSCA)*(MT0I+PAD) + (31*LSPA) = 8432
/* sched write - iter 14 writesPerItem=1 */
s_waitcnt vmcnt(0)                                 // lgkmcnt=-1 vmcnt=0wait for global read before writing to local
_ds_store_b32 v[vgprLocalWriteAddrB], v[vgprG2LB+0] offset:0 // lwoB_0_0_0_0 = (0*LSCB)*(MT1J+PAD) + (0*LSPB) = 0
/* sched write - iter 14 writesPerItem=1 */
s_waitcnt vmcnt(0)                                 // lgkmcnt=-1 vmcnt=0wait for global read before writing to local
_ds_store_b32 v[vgprLocalWriteAddrB], v[vgprG2LB+1] offset:272 // lwoB_0_0_1_0 = (0*LSCB)*(MT1J+PAD) + (1*LSPB) = 272
/* sched write - iter 14 writesPerItem=1 */
s_waitcnt vmcnt(0)                                 // lgkmcnt=-1 vmcnt=0wait for global read before writing to local
_ds_store_b32 v[vgprLocalWriteAddrB], v[vgprG2LB+2] offset:544 // lwoB_0_0_2_0 = (0*LSCB)*(MT1J+PAD) + (2*LSPB) = 544
/* sched write - iter 14 writesPerItem=1 */
s_waitcnt vmcnt(0)                                 // lgkmcnt=-1 vmcnt=0wait for global read before writing to local
_ds_store_b32 v[vgprLocalWriteAddrB], v[vgprG2LB+3] offset:816 // lwoB_0_0_3_0 = (0*LSCB)*(MT1J+PAD) + (3*LSPB) = 816
/* sched write - iter 14 writesPerItem=1 */
s_waitcnt vmcnt(0)                                 // lgkmcnt=-1 vmcnt=0wait for global read before writing to local
_ds_store_b32 v[vgprLocalWriteAddrB], v[vgprG2LB+4] offset:1088 // lwoB_0_0_4_0 = (0*LSCB)*(MT1J+PAD) + (4*LSPB) = 1088
/* sched write - iter 14 writesPerItem=1 */
s_waitcnt vmcnt(0)                                 // lgkmcnt=-1 vmcnt=0wait for global read before writing to local
_ds_store_b32 v[vgprLocalWriteAddrB], v[vgprG2LB+5] offset:1360 // lwoB_0_0_5_0 = (0*LSCB)*(MT1J+PAD) + (5*LSPB) = 1360
/* sched write - iter 14 writesPerItem=1 */
s_waitcnt vmcnt(0)                                 // lgkmcnt=-1 vmcnt=0wait for global read before writing to local
_ds_store_b32 v[vgprLocalWriteAddrB], v[vgprG2LB+6] offset:1632 // lwoB_0_0_6_0 = (0*LSCB)*(MT1J+PAD) + (6*LSPB) = 1632
/* sched write - iter 14 writesPerItem=1 */
s_waitcnt vmcnt(0)                                 // lgkmcnt=-1 vmcnt=0wait for global read before writing to local
_ds_store_b32 v[vgprLocalWriteAddrB], v[vgprG2LB+7] offset:1904 // lwoB_0_0_7_0 = (0*LSCB)*(MT1J+PAD) + (7*LSPB) = 1904

/* local write swap offsets a */

/* local write swap offsets b */

/* local read swap offsets a */

/* local read swap offsets b */

/* local read init pointers a */

/* localReadInitPointers */

/* local read init pointers b */

/* localReadInitPointers */
v_mfma_f32_32x32x4bf16 a[48+0:63+0], v[vgprValuA_X14_I0+6+0+0], v[vgprValuB_X14_I0+0+0+0], a[48:63]


/* iter 15 */

/*  grEndMfmaIndex:39, lwStartMfmaIndex:39, lwEndMfmaIndex:59  */
/*  numMfmaForLR:2, barrierMfmaIndex:61 */
/*  mfmaIndex:60  */
v_mfma_f32_32x32x4bf16 a[0+0:15+0], v[vgprValuA_X14_I0+0+1+0], v[vgprValuB_X14_I0+0+1+0], a[0:15]
/*  mfmaIndex:61  */
s_waitcnt lgkmcnt(0)                               // lgkmcnt=0 vmcnt=-13wait for local write
s_waitcnt lgkmcnt(0) & vmcnt(0)                    // force waitcnt0
s_barrier //
v_mfma_f32_32x32x4bf16 a[16+0:31+0], v[vgprValuA_X14_I0+2+1+0], v[vgprValuB_X14_I0+0+1+0], a[16:31]
/*  mfmaIndex:62  */
_ds_load_b64 v[vgprValuA_X0_I0+0:vgprValuA_X0_I0+0+1], v[vgprLocalReadAddrA] offset:0 // L -> Reg lro=0 swapByteOffset=0 ti=64 vIdx=0 rIdx=0 oIdx=0 buffer=0 iui=0
_ds_load_b64 v[vgprValuB_X0_I0+0:vgprValuB_X0_I0+0+1], v[vgprLocalReadAddrB] offset:0 // L -> Reg lro=0 swapByteOffset=0 ti=64 vIdx=0 rIdx=0 oIdx=0 buffer=0 iui=0
_ds_load_b64 v[vgprValuA_X0_I0+2:vgprValuA_X0_I0+2+1], v[vgprLocalReadAddrA] offset:8704 // L -> Reg lro=0 swapByteOffset=0 ti=64 vIdx=1 rIdx=0 oIdx=0 buffer=0 iui=0
_ds_load_b64 v[vgprValuA_X0_I0+4:vgprValuA_X0_I0+4+1], v[vgprLocalReadAddrA] offset:17408 // L -> Reg lro=0 swapByteOffset=0 ti=64 vIdx=2 rIdx=0 oIdx=0 buffer=0 iui=0
	;; [unrolled: 1-line block ×3, first 2 shown]
v_mfma_f32_32x32x4bf16 a[32+0:47+0], v[vgprValuA_X14_I0+4+1+0], v[vgprValuB_X14_I0+0+1+0], a[32:47]
/*  mfmaIndex:63  */
v_mfma_f32_32x32x4bf16 a[48+0:63+0], v[vgprValuA_X14_I0+6+1+0], v[vgprValuB_X14_I0+0+1+0], a[48:63]


/******************************************/
/* Unrolled Loop - End 2/2 (final)        */
/******************************************/


/* closeLoop loopL finalLoop=1 tailLoop=0 */
s_sub_u32 s[sgprLoopCounterL], s[sgprLoopCounterL], 1 // dec counterL
s_cmp_eq_i32 s[sgprLoopCounterL], 0x1              // counterL==1
s_cbranch_scc0 LoopBeginL_1                        // restart LoopL
LoopEndL_evenexit_4: // unroll loop eveniter exit
s_branch LoopEndL_2                                // exit unroll loopL (and skip second exit code)
LoopEndL_oddexit_3: // unroll loop odditer exit

/* Select high bank of LDS */
LoopEndL_2:


/* Before NLL: Check VGPR.checkin for INT8 LW */


/******************************************/
/* Opt. NoLoadLoop Without PAP - Begin                                      */
/******************************************/

s_cmpk_eq_u32 s[sgprBeta], 0x0                     // Beta == 0
s_cbranch_scc0 OptNLL_End_17                       // Branch if Beta is not zero

s_cmp_eq_u32 s[sgprAlpha], 1.0                     // Alpha == 1.0 ?
s_cbranch_scc0 OptNLL_End_17                       // branch if alpha != 1

s_and_b32 s34, 255, s[sgprSizeI]                   // s34 = s[sgprSizeI] % 256
s_add_u32 s35, -0x1, s[sgprNumWorkGroups0]         // 
s_cmp_ge_u32 s[sgprWorkGroup0], s35                // wg0 >= nwg0-1 ?
s_cselect_b32 s34, s34, 0                          // set rMT0
s_cmpk_gt_u32 s34, 0x0                             // rMT0 > 0
s_cbranch_scc1 OptNLL_End_17                       // jump if edges required
s_and_b32 s34, 63, s[sgprSizeJ]                    // s34 = s[sgprSizeJ] % 64
s_add_u32 s35, -0x1, s[sgprNumWorkGroups1]         // 
s_cmp_ge_u32 s[sgprWorkGroup1], s35                // wg1 >= nwg1-1
s_cselect_b32 s34, s34, 0                          // set rMT1
s_cmpk_gt_u32 s34, 0x0                             // rMT1 > 0
s_cbranch_scc1 OptNLL_End_17                       // jump if edges required

s_and_b32 s35, 63, s[sgprSizesSum+0]               // s35 = s[sgprSizesSum+0] % 64
s_cmp_eq_u32 s35, 0x0                              // numIterL == 0
s_cbranch_scc0 OptNLL_End_17                       // skip if tail loop required


	;; [unrolled: 1-line block ×3, first 2 shown]
/* iter 0 (last unrolled loop) */

/*  grEndMfmaIndex:0, lwStartMfmaIndex:59, lwEndMfmaIndex:59  */
/*  numMfmaForLR:2, barrierMfmaIndex:61 */
/*  mfmaIndex:0  */
s_waitcnt lgkmcnt(0)                               // lgkmcnt=0 vmcnt=-1wait for prior local read local write old=0, new=0 newLW=0 newLR=0
v_mfma_f32_32x32x4bf16 a[0+0:15+0], v[vgprValuA_X0_I0+0+0+0], v[vgprValuB_X0_I0+0+0+0], a[0:15]
/*  mfmaIndex:1  */
_ds_load_b64 v[vgprValuA_X2_I0+0:vgprValuA_X2_I0+0+1], v[vgprLocalReadAddrA] offset:16 // L -> Reg lro=8 swapByteOffset=0 ti=64 vIdx=0 rIdx=0 oIdx=0 buffer=2 iui=0
_ds_load_b64 v[vgprValuB_X2_I0+0:vgprValuB_X2_I0+0+1], v[vgprLocalReadAddrB] offset:16 // L -> Reg lro=8 swapByteOffset=0 ti=64 vIdx=0 rIdx=0 oIdx=0 buffer=2 iui=0
_ds_load_b64 v[vgprValuA_X2_I0+2:vgprValuA_X2_I0+2+1], v[vgprLocalReadAddrA] offset:8720 // L -> Reg lro=8 swapByteOffset=0 ti=64 vIdx=1 rIdx=0 oIdx=0 buffer=2 iui=0
_ds_load_b64 v[vgprValuA_X2_I0+4:vgprValuA_X2_I0+4+1], v[vgprLocalReadAddrA] offset:17424 // L -> Reg lro=8 swapByteOffset=0 ti=64 vIdx=2 rIdx=0 oIdx=0 buffer=2 iui=0
	;; [unrolled: 1-line block ×3, first 2 shown]
/* localReadsVacancy: latencyLeft 3 */
_ds_load_b64 v[vgprValuA_X4_I0+0:vgprValuA_X4_I0+0+1], v[vgprLocalReadAddrA] offset:32 // L -> Reg lro=16 swapByteOffset=0 ti=64 vIdx=0 rIdx=0 oIdx=0 buffer=4 iui=0
v_mfma_f32_32x32x4bf16 a[16+0:31+0], v[vgprValuA_X0_I0+2+0+0], v[vgprValuB_X0_I0+0+0+0], a[16:31]
/*  mfmaIndex:2  */
/* localReadsVacancy: latencyLeft 13 */
_ds_load_b64 v[vgprValuB_X4_I0+0:vgprValuB_X4_I0+0+1], v[vgprLocalReadAddrB] offset:32 // L -> Reg lro=16 swapByteOffset=0 ti=64 vIdx=0 rIdx=0 oIdx=0 buffer=4 iui=0
_ds_load_b64 v[vgprValuA_X4_I0+2:vgprValuA_X4_I0+2+1], v[vgprLocalReadAddrA] offset:8736 // L -> Reg lro=16 swapByteOffset=0 ti=64 vIdx=1 rIdx=0 oIdx=0 buffer=4 iui=0
_ds_load_b64 v[vgprValuA_X4_I0+4:vgprValuA_X4_I0+4+1], v[vgprLocalReadAddrA] offset:17440 // L -> Reg lro=16 swapByteOffset=0 ti=64 vIdx=2 rIdx=0 oIdx=0 buffer=4 iui=0
	;; [unrolled: 1-line block ×3, first 2 shown]
_ds_load_b64 v[vgprValuA_X6_I0+0:vgprValuA_X6_I0+0+1], v[vgprLocalReadAddrA] offset:48 // L -> Reg lro=24 swapByteOffset=0 ti=64 vIdx=0 rIdx=0 oIdx=0 buffer=6 iui=0
_ds_load_b64 v[vgprValuB_X6_I0+0:vgprValuB_X6_I0+0+1], v[vgprLocalReadAddrB] offset:48 // L -> Reg lro=24 swapByteOffset=0 ti=64 vIdx=0 rIdx=0 oIdx=0 buffer=6 iui=0
v_mfma_f32_32x32x4bf16 a[32+0:47+0], v[vgprValuA_X0_I0+4+0+0], v[vgprValuB_X0_I0+0+0+0], a[32:47]
/*  mfmaIndex:3  */
/* localReadsVacancy: latencyLeft 13 */
_ds_load_b64 v[vgprValuA_X6_I0+2:vgprValuA_X6_I0+2+1], v[vgprLocalReadAddrA] offset:8752 // L -> Reg lro=24 swapByteOffset=0 ti=64 vIdx=1 rIdx=0 oIdx=0 buffer=6 iui=0
_ds_load_b64 v[vgprValuA_X6_I0+4:vgprValuA_X6_I0+4+1], v[vgprLocalReadAddrA] offset:17456 // L -> Reg lro=24 swapByteOffset=0 ti=64 vIdx=2 rIdx=0 oIdx=0 buffer=6 iui=0
	;; [unrolled: 1-line block ×3, first 2 shown]
_ds_load_b64 v[vgprValuA_X8_I0+0:vgprValuA_X8_I0+0+1], v[vgprLocalReadAddrA] offset:64 // L -> Reg lro=32 swapByteOffset=0 ti=64 vIdx=0 rIdx=0 oIdx=0 buffer=8 iui=0
_ds_load_b64 v[vgprValuB_X8_I0+0:vgprValuB_X8_I0+0+1], v[vgprLocalReadAddrB] offset:64 // L -> Reg lro=32 swapByteOffset=0 ti=64 vIdx=0 rIdx=0 oIdx=0 buffer=8 iui=0
_ds_load_b64 v[vgprValuA_X8_I0+2:vgprValuA_X8_I0+2+1], v[vgprLocalReadAddrA] offset:8768 // L -> Reg lro=32 swapByteOffset=0 ti=64 vIdx=1 rIdx=0 oIdx=0 buffer=8 iui=0
v_mfma_f32_32x32x4bf16 a[48+0:63+0], v[vgprValuA_X0_I0+6+0+0], v[vgprValuB_X0_I0+0+0+0], a[48:63]
/* numPrefetchIter=0 */
/* dataAtIterA=-1 numReadsIterA=1 skipReadsIterA=1 readsPerIterA=4 */
/* dataAtIterB=-1 numReadsIterB=1 skipReadsIterB=1 readsPerIterB=1 */


/* iter 1 (last unrolled loop) */

/*  grEndMfmaIndex:0, lwStartMfmaIndex:59, lwEndMfmaIndex:59  */
/*  numMfmaForLR:2, barrierMfmaIndex:61 */
/*  mfmaIndex:4  */
/* localReadsVacancy: latencyLeft 13 */
_ds_load_b64 v[vgprValuA_X8_I0+4:vgprValuA_X8_I0+4+1], v[vgprLocalReadAddrA] offset:17472 // L -> Reg lro=32 swapByteOffset=0 ti=64 vIdx=2 rIdx=0 oIdx=0 buffer=8 iui=0
_ds_load_b64 v[vgprValuA_X8_I0+6:vgprValuA_X8_I0+6+1], v[vgprLocalReadAddrA] offset:26176 // L -> Reg lro=32 swapByteOffset=0 ti=64 vIdx=3 rIdx=0 oIdx=0 buffer=8 iui=0
_ds_load_b64 v[vgprValuA_X10_I0+0:vgprValuA_X10_I0+0+1], v[vgprLocalReadAddrA] offset:80 // L -> Reg lro=40 swapByteOffset=0 ti=64 vIdx=0 rIdx=0 oIdx=0 buffer=10 iui=0
_ds_load_b64 v[vgprValuB_X10_I0+0:vgprValuB_X10_I0+0+1], v[vgprLocalReadAddrB] offset:80 // L -> Reg lro=40 swapByteOffset=0 ti=64 vIdx=0 rIdx=0 oIdx=0 buffer=10 iui=0
_ds_load_b64 v[vgprValuA_X10_I0+2:vgprValuA_X10_I0+2+1], v[vgprLocalReadAddrA] offset:8784 // L -> Reg lro=40 swapByteOffset=0 ti=64 vIdx=1 rIdx=0 oIdx=0 buffer=10 iui=0
_ds_load_b64 v[vgprValuA_X10_I0+4:vgprValuA_X10_I0+4+1], v[vgprLocalReadAddrA] offset:17488 // L -> Reg lro=40 swapByteOffset=0 ti=64 vIdx=2 rIdx=0 oIdx=0 buffer=10 iui=0
s_waitcnt lgkmcnt(15)                              // lgkmcnt=0 vmcnt=-1wait for prior local read local write old=5, new=10 newLW=0 newLR=5
v_mfma_f32_32x32x4bf16 a[0+0:15+0], v[vgprValuA_X0_I0+0+1+0], v[vgprValuB_X0_I0+0+1+0], a[0:15]
/*  mfmaIndex:5  */
/* localReadsVacancy: latencyLeft 13 */
_ds_load_b64 v[vgprValuA_X10_I0+6:vgprValuA_X10_I0+6+1], v[vgprLocalReadAddrA] offset:26192 // L -> Reg lro=40 swapByteOffset=0 ti=64 vIdx=3 rIdx=0 oIdx=0 buffer=10 iui=0
_ds_load_b64 v[vgprValuA_X12_I0+0:vgprValuA_X12_I0+0+1], v[vgprLocalReadAddrA] offset:96 // L -> Reg lro=48 swapByteOffset=0 ti=64 vIdx=0 rIdx=0 oIdx=0 buffer=12 iui=0
_ds_load_b64 v[vgprValuB_X12_I0+0:vgprValuB_X12_I0+0+1], v[vgprLocalReadAddrB] offset:96 // L -> Reg lro=48 swapByteOffset=0 ti=64 vIdx=0 rIdx=0 oIdx=0 buffer=12 iui=0
_ds_load_b64 v[vgprValuA_X12_I0+2:vgprValuA_X12_I0+2+1], v[vgprLocalReadAddrA] offset:8800 // L -> Reg lro=48 swapByteOffset=0 ti=64 vIdx=1 rIdx=0 oIdx=0 buffer=12 iui=0
_ds_load_b64 v[vgprValuA_X12_I0+4:vgprValuA_X12_I0+4+1], v[vgprLocalReadAddrA] offset:17504 // L -> Reg lro=48 swapByteOffset=0 ti=64 vIdx=2 rIdx=0 oIdx=0 buffer=12 iui=0
	;; [unrolled: 1-line block ×3, first 2 shown]
v_mfma_f32_32x32x4bf16 a[16+0:31+0], v[vgprValuA_X0_I0+2+1+0], v[vgprValuB_X0_I0+0+1+0], a[16:31]
/*  mfmaIndex:6  */
/* localReadsVacancy: latencyLeft 13 */
_ds_load_b64 v[vgprValuA_X14_I0+0:vgprValuA_X14_I0+0+1], v[vgprLocalReadAddrA] offset:112 // L -> Reg lro=56 swapByteOffset=0 ti=64 vIdx=0 rIdx=0 oIdx=0 buffer=14 iui=0
_ds_load_b64 v[vgprValuB_X14_I0+0:vgprValuB_X14_I0+0+1], v[vgprLocalReadAddrB] offset:112 // L -> Reg lro=56 swapByteOffset=0 ti=64 vIdx=0 rIdx=0 oIdx=0 buffer=14 iui=0
_ds_load_b64 v[vgprValuA_X14_I0+2:vgprValuA_X14_I0+2+1], v[vgprLocalReadAddrA] offset:8816 // L -> Reg lro=56 swapByteOffset=0 ti=64 vIdx=1 rIdx=0 oIdx=0 buffer=14 iui=0
_ds_load_b64 v[vgprValuA_X14_I0+4:vgprValuA_X14_I0+4+1], v[vgprLocalReadAddrA] offset:17520 // L -> Reg lro=56 swapByteOffset=0 ti=64 vIdx=2 rIdx=0 oIdx=0 buffer=14 iui=0
	;; [unrolled: 1-line block ×3, first 2 shown]
v_mfma_f32_32x32x4bf16 a[32+0:47+0], v[vgprValuA_X0_I0+4+1+0], v[vgprValuB_X0_I0+0+1+0], a[32:47]
/*  mfmaIndex:7  */
/* localReadsVacancy: latencyLeft 13 */
v_mfma_f32_32x32x4bf16 a[48+0:63+0], v[vgprValuA_X0_I0+6+1+0], v[vgprValuB_X0_I0+0+1+0], a[48:63]
/* numPrefetchIter=0 */
/* dataAtIterA=-1 numReadsIterA=2 skipReadsIterA=2 readsPerIterA=4 */
/* dataAtIterB=-1 numReadsIterB=2 skipReadsIterB=2 readsPerIterB=1 */


/* iter 2 (last unrolled loop) */

/*  grEndMfmaIndex:0, lwStartMfmaIndex:59, lwEndMfmaIndex:59  */
/*  numMfmaForLR:2, barrierMfmaIndex:61 */
/*  mfmaIndex:8  */
/* localReadsVacancy: latencyLeft 13 */
s_waitcnt lgkmcnt(15)                              // lgkmcnt=0 vmcnt=-1wait for prior local read local write old=0, new=5 newLW=0 newLR=5
v_mfma_f32_32x32x4bf16 a[0+0:15+0], v[vgprValuA_X2_I0+0+0+0], v[vgprValuB_X2_I0+0+0+0], a[0:15]
/*  mfmaIndex:9  */
/* localReadsVacancy: latencyLeft 13 */
v_mfma_f32_32x32x4bf16 a[16+0:31+0], v[vgprValuA_X2_I0+2+0+0], v[vgprValuB_X2_I0+0+0+0], a[16:31]
/*  mfmaIndex:10  */
/* localReadsVacancy: latencyLeft 13 */
	;; [unrolled: 3-line block ×3, first 2 shown]
v_mfma_f32_32x32x4bf16 a[48+0:63+0], v[vgprValuA_X2_I0+6+0+0], v[vgprValuB_X2_I0+0+0+0], a[48:63]
/* numPrefetchIter=0 */
/* dataAtIterA=0 numReadsIterA=3 skipReadsIterA=2 readsPerIterA=4 */
/* dataAtIterB=0 numReadsIterB=3 skipReadsIterB=2 readsPerIterB=1 */


/* iter 3 (last unrolled loop) */

/*  grEndMfmaIndex:0, lwStartMfmaIndex:59, lwEndMfmaIndex:59  */
/*  numMfmaForLR:2, barrierMfmaIndex:61 */
/*  mfmaIndex:12  */
/* localReadsVacancy: latencyLeft 13 */
s_waitcnt lgkmcnt(15)                              // lgkmcnt=0 vmcnt=-1wait for prior local read local write old=2, new=12 newLW=0 newLR=10
v_mfma_f32_32x32x4bf16 a[0+0:15+0], v[vgprValuA_X2_I0+0+1+0], v[vgprValuB_X2_I0+0+1+0], a[0:15]
/*  mfmaIndex:13  */
/* localReadsVacancy: latencyLeft 13 */
v_mfma_f32_32x32x4bf16 a[16+0:31+0], v[vgprValuA_X2_I0+2+1+0], v[vgprValuB_X2_I0+0+1+0], a[16:31]
/*  mfmaIndex:14  */
/* localReadsVacancy: latencyLeft 13 */
	;; [unrolled: 3-line block ×3, first 2 shown]
v_mfma_f32_32x32x4bf16 a[48+0:63+0], v[vgprValuA_X2_I0+6+1+0], v[vgprValuB_X2_I0+0+1+0], a[48:63]
/* numPrefetchIter=0 */
/* dataAtIterA=0 numReadsIterA=4 skipReadsIterA=3 readsPerIterA=4 */
/* dataAtIterB=0 numReadsIterB=4 skipReadsIterB=3 readsPerIterB=1 */


/* iter 4 (last unrolled loop) */

/*  grEndMfmaIndex:0, lwStartMfmaIndex:59, lwEndMfmaIndex:59  */
/*  numMfmaForLR:2, barrierMfmaIndex:61 */
/*  mfmaIndex:16  */
/* localReadsVacancy: latencyLeft 13 */
s_waitcnt lgkmcnt(15)                              // lgkmcnt=0 vmcnt=-1wait for prior local read local write old=5, new=15 newLW=0 newLR=10
v_mfma_f32_32x32x4bf16 a[0+0:15+0], v[vgprValuA_X4_I0+0+0+0], v[vgprValuB_X4_I0+0+0+0], a[0:15]
/*  mfmaIndex:17  */
/* localReadsVacancy: latencyLeft 13 */
v_mfma_f32_32x32x4bf16 a[16+0:31+0], v[vgprValuA_X4_I0+2+0+0], v[vgprValuB_X4_I0+0+0+0], a[16:31]
/*  mfmaIndex:18  */
/* localReadsVacancy: latencyLeft 13 */
	;; [unrolled: 3-line block ×3, first 2 shown]
v_mfma_f32_32x32x4bf16 a[48+0:63+0], v[vgprValuA_X4_I0+6+0+0], v[vgprValuB_X4_I0+0+0+0], a[48:63]
/* numPrefetchIter=0 */
/* dataAtIterA=1 numReadsIterA=5 skipReadsIterA=3 readsPerIterA=4 */
/* dataAtIterB=1 numReadsIterB=5 skipReadsIterB=3 readsPerIterB=1 */


/* iter 5 (last unrolled loop) */

/*  grEndMfmaIndex:0, lwStartMfmaIndex:59, lwEndMfmaIndex:59  */
/*  numMfmaForLR:2, barrierMfmaIndex:61 */
/*  mfmaIndex:20  */
/* localReadsVacancy: latencyLeft 13 */
s_waitcnt lgkmcnt(15)                              // lgkmcnt=0 vmcnt=-1wait for prior local read local write old=5, new=20 newLW=0 newLR=15
v_mfma_f32_32x32x4bf16 a[0+0:15+0], v[vgprValuA_X4_I0+0+1+0], v[vgprValuB_X4_I0+0+1+0], a[0:15]
/*  mfmaIndex:21  */
/* localReadsVacancy: latencyLeft 13 */
v_mfma_f32_32x32x4bf16 a[16+0:31+0], v[vgprValuA_X4_I0+2+1+0], v[vgprValuB_X4_I0+0+1+0], a[16:31]
/*  mfmaIndex:22  */
/* localReadsVacancy: latencyLeft 13 */
v_mfma_f32_32x32x4bf16 a[32+0:47+0], v[vgprValuA_X4_I0+4+1+0], v[vgprValuB_X4_I0+0+1+0], a[32:47]
/*  mfmaIndex:23  */
/* localReadsVacancy: latencyLeft 13 */
v_mfma_f32_32x32x4bf16 a[48+0:63+0], v[vgprValuA_X4_I0+6+1+0], v[vgprValuB_X4_I0+0+1+0], a[48:63]
/* numPrefetchIter=0 */
/* dataAtIterA=1 numReadsIterA=6 skipReadsIterA=4 readsPerIterA=4 */
/* dataAtIterB=1 numReadsIterB=6 skipReadsIterB=4 readsPerIterB=1 */


/* iter 6 (last unrolled loop) */

/*  grEndMfmaIndex:0, lwStartMfmaIndex:59, lwEndMfmaIndex:59  */
/*  numMfmaForLR:2, barrierMfmaIndex:61 */
/*  mfmaIndex:24  */
/* localReadsVacancy: latencyLeft 13 */
s_waitcnt lgkmcnt(15)                              // lgkmcnt=0 vmcnt=-1wait for prior local read local write old=5, new=20 newLW=0 newLR=15
v_mfma_f32_32x32x4bf16 a[0+0:15+0], v[vgprValuA_X6_I0+0+0+0], v[vgprValuB_X6_I0+0+0+0], a[0:15]
/*  mfmaIndex:25  */
/* localReadsVacancy: latencyLeft 13 */
v_mfma_f32_32x32x4bf16 a[16+0:31+0], v[vgprValuA_X6_I0+2+0+0], v[vgprValuB_X6_I0+0+0+0], a[16:31]
/*  mfmaIndex:26  */
/* localReadsVacancy: latencyLeft 13 */
	;; [unrolled: 3-line block ×3, first 2 shown]
v_mfma_f32_32x32x4bf16 a[48+0:63+0], v[vgprValuA_X6_I0+6+0+0], v[vgprValuB_X6_I0+0+0+0], a[48:63]
/* numPrefetchIter=0 */
/* dataAtIterA=2 numReadsIterA=7 skipReadsIterA=4 readsPerIterA=4 */
/* dataAtIterB=2 numReadsIterB=7 skipReadsIterB=4 readsPerIterB=1 */


/* iter 7 (last unrolled loop) */

/*  grEndMfmaIndex:0, lwStartMfmaIndex:59, lwEndMfmaIndex:59  */
/*  numMfmaForLR:2, barrierMfmaIndex:61 */
/*  mfmaIndex:28  */
/* localReadsVacancy: latencyLeft 13 */
s_waitcnt lgkmcnt(15)                              // lgkmcnt=0 vmcnt=-1wait for prior local read local write old=0, new=20 newLW=0 newLR=20
v_mfma_f32_32x32x4bf16 a[0+0:15+0], v[vgprValuA_X6_I0+0+1+0], v[vgprValuB_X6_I0+0+1+0], a[0:15]
/*  mfmaIndex:29  */
/* localReadsVacancy: latencyLeft 13 */
v_mfma_f32_32x32x4bf16 a[16+0:31+0], v[vgprValuA_X6_I0+2+1+0], v[vgprValuB_X6_I0+0+1+0], a[16:31]
/*  mfmaIndex:30  */
/* localReadsVacancy: latencyLeft 13 */
	;; [unrolled: 3-line block ×3, first 2 shown]
v_mfma_f32_32x32x4bf16 a[48+0:63+0], v[vgprValuA_X6_I0+6+1+0], v[vgprValuB_X6_I0+0+1+0], a[48:63]
/* numPrefetchIter=0 */
/* dataAtIterA=2 numReadsIterA=7 skipReadsIterA=4 readsPerIterA=4 */
/* dataAtIterB=2 numReadsIterB=7 skipReadsIterB=4 readsPerIterB=1 */


/* iter 8 (last unrolled loop) */

/*  grEndMfmaIndex:0, lwStartMfmaIndex:59, lwEndMfmaIndex:59  */
/*  numMfmaForLR:2, barrierMfmaIndex:61 */
/*  mfmaIndex:32  */
/* localReadsVacancy: latencyLeft 13 */
s_waitcnt lgkmcnt(15)                              // lgkmcnt=0 vmcnt=-1wait for prior local read local write old=0, new=15 newLW=0 newLR=15
v_mfma_f32_32x32x4bf16 a[0+0:15+0], v[vgprValuA_X8_I0+0+0+0], v[vgprValuB_X8_I0+0+0+0], a[0:15]
/*  mfmaIndex:33  */
/* localReadsVacancy: latencyLeft 13 */
v_mfma_f32_32x32x4bf16 a[16+0:31+0], v[vgprValuA_X8_I0+2+0+0], v[vgprValuB_X8_I0+0+0+0], a[16:31]
/*  mfmaIndex:34  */
/* localReadsVacancy: latencyLeft 13 */
v_mfma_f32_32x32x4bf16 a[32+0:47+0], v[vgprValuA_X8_I0+4+0+0], v[vgprValuB_X8_I0+0+0+0], a[32:47]
/*  mfmaIndex:35  */
/* localReadsVacancy: latencyLeft 13 */
v_mfma_f32_32x32x4bf16 a[48+0:63+0], v[vgprValuA_X8_I0+6+0+0], v[vgprValuB_X8_I0+0+0+0], a[48:63]
/* numPrefetchIter=0 */
/* dataAtIterA=3 numReadsIterA=7 skipReadsIterA=3 readsPerIterA=4 */
/* dataAtIterB=3 numReadsIterB=7 skipReadsIterB=3 readsPerIterB=1 */


/* iter 9 (last unrolled loop) */

/*  grEndMfmaIndex:0, lwStartMfmaIndex:59, lwEndMfmaIndex:59  */
/*  numMfmaForLR:2, barrierMfmaIndex:61 */
/*  mfmaIndex:36  */
/* localReadsVacancy: latencyLeft 13 */
s_waitcnt lgkmcnt(15)                              // lgkmcnt=0 vmcnt=-1wait for prior local read local write old=0, new=15 newLW=0 newLR=15
v_mfma_f32_32x32x4bf16 a[0+0:15+0], v[vgprValuA_X8_I0+0+1+0], v[vgprValuB_X8_I0+0+1+0], a[0:15]
/*  mfmaIndex:37  */
/* localReadsVacancy: latencyLeft 13 */
v_mfma_f32_32x32x4bf16 a[16+0:31+0], v[vgprValuA_X8_I0+2+1+0], v[vgprValuB_X8_I0+0+1+0], a[16:31]
/*  mfmaIndex:38  */
/* localReadsVacancy: latencyLeft 13 */
	;; [unrolled: 3-line block ×3, first 2 shown]
v_mfma_f32_32x32x4bf16 a[48+0:63+0], v[vgprValuA_X8_I0+6+1+0], v[vgprValuB_X8_I0+0+1+0], a[48:63]
/* numPrefetchIter=0 */
/* dataAtIterA=3 numReadsIterA=7 skipReadsIterA=3 readsPerIterA=4 */
/* dataAtIterB=3 numReadsIterB=7 skipReadsIterB=3 readsPerIterB=1 */


/* iter 10 (last unrolled loop) */

/*  grEndMfmaIndex:0, lwStartMfmaIndex:59, lwEndMfmaIndex:59  */
/*  numMfmaForLR:2, barrierMfmaIndex:61 */
/*  mfmaIndex:40  */
/* localReadsVacancy: latencyLeft 13 */
s_waitcnt lgkmcnt(10)                              // lgkmcnt=0 vmcnt=-1wait for prior local read local write old=0, new=10 newLW=0 newLR=10
v_mfma_f32_32x32x4bf16 a[0+0:15+0], v[vgprValuA_X10_I0+0+0+0], v[vgprValuB_X10_I0+0+0+0], a[0:15]
/*  mfmaIndex:41  */
/* localReadsVacancy: latencyLeft 13 */
v_mfma_f32_32x32x4bf16 a[16+0:31+0], v[vgprValuA_X10_I0+2+0+0], v[vgprValuB_X10_I0+0+0+0], a[16:31]
/*  mfmaIndex:42  */
/* localReadsVacancy: latencyLeft 13 */
	;; [unrolled: 3-line block ×3, first 2 shown]
v_mfma_f32_32x32x4bf16 a[48+0:63+0], v[vgprValuA_X10_I0+6+0+0], v[vgprValuB_X10_I0+0+0+0], a[48:63]
/* numPrefetchIter=0 */
/* dataAtIterA=4 numReadsIterA=7 skipReadsIterA=2 readsPerIterA=4 */
/* dataAtIterB=4 numReadsIterB=7 skipReadsIterB=2 readsPerIterB=1 */


/* iter 11 (last unrolled loop) */

/*  grEndMfmaIndex:0, lwStartMfmaIndex:59, lwEndMfmaIndex:59  */
/*  numMfmaForLR:2, barrierMfmaIndex:61 */
/*  mfmaIndex:44  */
/* localReadsVacancy: latencyLeft 13 */
s_waitcnt lgkmcnt(10)                              // lgkmcnt=0 vmcnt=-1wait for prior local read local write old=0, new=10 newLW=0 newLR=10
v_mfma_f32_32x32x4bf16 a[0+0:15+0], v[vgprValuA_X10_I0+0+1+0], v[vgprValuB_X10_I0+0+1+0], a[0:15]
/*  mfmaIndex:45  */
/* localReadsVacancy: latencyLeft 13 */
v_mfma_f32_32x32x4bf16 a[16+0:31+0], v[vgprValuA_X10_I0+2+1+0], v[vgprValuB_X10_I0+0+1+0], a[16:31]
/*  mfmaIndex:46  */
/* localReadsVacancy: latencyLeft 13 */
	;; [unrolled: 3-line block ×3, first 2 shown]
v_mfma_f32_32x32x4bf16 a[48+0:63+0], v[vgprValuA_X10_I0+6+1+0], v[vgprValuB_X10_I0+0+1+0], a[48:63]
/* numPrefetchIter=0 */
/* dataAtIterA=4 numReadsIterA=7 skipReadsIterA=2 readsPerIterA=4 */
/* dataAtIterB=4 numReadsIterB=7 skipReadsIterB=2 readsPerIterB=1 */


/* iter 12 (last unrolled loop) */

/*  grEndMfmaIndex:0, lwStartMfmaIndex:59, lwEndMfmaIndex:59  */
/*  numMfmaForLR:2, barrierMfmaIndex:61 */
/*  mfmaIndex:48  */
/* localReadsVacancy: latencyLeft 13 */
s_waitcnt lgkmcnt(5)                               // lgkmcnt=0 vmcnt=-1wait for prior local read local write old=0, new=5 newLW=0 newLR=5
v_mfma_f32_32x32x4bf16 a[0+0:15+0], v[vgprValuA_X12_I0+0+0+0], v[vgprValuB_X12_I0+0+0+0], a[0:15]
/*  mfmaIndex:49  */
/* localReadsVacancy: latencyLeft 13 */
v_mfma_f32_32x32x4bf16 a[16+0:31+0], v[vgprValuA_X12_I0+2+0+0], v[vgprValuB_X12_I0+0+0+0], a[16:31]
/*  mfmaIndex:50  */
/* localReadsVacancy: latencyLeft 13 */
v_mfma_f32_32x32x4bf16 a[32+0:47+0], v[vgprValuA_X12_I0+4+0+0], v[vgprValuB_X12_I0+0+0+0], a[32:47]
/*  mfmaIndex:51  */
/* localReadsVacancy: latencyLeft 13 */
v_mfma_f32_32x32x4bf16 a[48+0:63+0], v[vgprValuA_X12_I0+6+0+0], v[vgprValuB_X12_I0+0+0+0], a[48:63]
/* numPrefetchIter=0 */
/* dataAtIterA=5 numReadsIterA=7 skipReadsIterA=1 readsPerIterA=4 */
/* dataAtIterB=5 numReadsIterB=7 skipReadsIterB=1 readsPerIterB=1 */


/* iter 13 (last unrolled loop) */

/*  grEndMfmaIndex:0, lwStartMfmaIndex:59, lwEndMfmaIndex:59  */
/*  numMfmaForLR:2, barrierMfmaIndex:61 */
/*  mfmaIndex:52  */
/* localReadsVacancy: latencyLeft 13 */
s_waitcnt lgkmcnt(5)                               // lgkmcnt=0 vmcnt=-1wait for prior local read local write old=0, new=5 newLW=0 newLR=5
v_mfma_f32_32x32x4bf16 a[0+0:15+0], v[vgprValuA_X12_I0+0+1+0], v[vgprValuB_X12_I0+0+1+0], a[0:15]
/*  mfmaIndex:53  */
/* localReadsVacancy: latencyLeft 13 */
v_mfma_f32_32x32x4bf16 a[16+0:31+0], v[vgprValuA_X12_I0+2+1+0], v[vgprValuB_X12_I0+0+1+0], a[16:31]
/*  mfmaIndex:54  */
/* localReadsVacancy: latencyLeft 13 */
	;; [unrolled: 3-line block ×3, first 2 shown]
v_mfma_f32_32x32x4bf16 a[48+0:63+0], v[vgprValuA_X12_I0+6+1+0], v[vgprValuB_X12_I0+0+1+0], a[48:63]
/* numPrefetchIter=0 */
/* dataAtIterA=5 numReadsIterA=7 skipReadsIterA=1 readsPerIterA=4 */
/* dataAtIterB=5 numReadsIterB=7 skipReadsIterB=1 readsPerIterB=1 */


/* iter 14 (last unrolled loop) */

/*  grEndMfmaIndex:0, lwStartMfmaIndex:59, lwEndMfmaIndex:59  */
/*  numMfmaForLR:2, barrierMfmaIndex:61 */
/*  mfmaIndex:56  */
/* localReadsVacancy: latencyLeft 13 */
s_waitcnt lgkmcnt(0)                               // lgkmcnt=0 vmcnt=-1wait for prior local read local write old=0, new=0 newLW=0 newLR=0
v_mfma_f32_32x32x4bf16 a[0+0:15+0], v[vgprValuA_X14_I0+0+0+0], v[vgprValuB_X14_I0+0+0+0], a[0:15]
/*  mfmaIndex:57  */
/* localReadsVacancy: latencyLeft 13 */
v_mfma_f32_32x32x4bf16 a[16+0:31+0], v[vgprValuA_X14_I0+2+0+0], v[vgprValuB_X14_I0+0+0+0], a[16:31]
/*  mfmaIndex:58  */
/* localReadsVacancy: latencyLeft 13 */
/* 1 LDS buffer: read-sync-write */
s_waitcnt lgkmcnt(0)                               // 
s_barrier                                          // 
v_mfma_f32_32x32x4bf16 a[32+0:47+0], v[vgprValuA_X14_I0+4+0+0], v[vgprValuB_X14_I0+0+0+0], a[32:47]
/*  mfmaIndex:59  */
/* localReadsVacancy: latencyLeft 13 */
v_mfma_f32_32x32x4bf16 a[48+0:63+0], v[vgprValuA_X14_I0+6+0+0], v[vgprValuB_X14_I0+0+0+0], a[48:63]
/* numPrefetchIter=0 */
/* dataAtIterA=6 numReadsIterA=7 skipReadsIterA=0 readsPerIterA=4 */
/* dataAtIterB=6 numReadsIterB=7 skipReadsIterB=0 readsPerIterB=1 */


/* iter 15 (last unrolled loop) */

/*  grEndMfmaIndex:0, lwStartMfmaIndex:59, lwEndMfmaIndex:59  */
/*  numMfmaForLR:2, barrierMfmaIndex:61 */
/*  mfmaIndex:60  */
v_mfma_f32_32x32x4bf16 a[0+0:15+0], v[vgprValuA_X14_I0+0+1+0], v[vgprValuB_X14_I0+0+1+0], a[0:15]
/*  mfmaIndex:61  */
v_mfma_f32_32x32x4bf16 a[16+0:31+0], v[vgprValuA_X14_I0+2+1+0], v[vgprValuB_X14_I0+0+1+0], a[16:31]
	;; [unrolled: 2-line block ×4, first 2 shown]

/* Stores for OptNLL */
Summation_End_OptNLL_18:
/* endSummation: add vgpr [0...162) to pool */
.set NumFullBlocks, UNDEF
.set WgmRemainder1, UNDEF
.set MagicNumberWgmRemainder1, UNDEF

/* Mapping of Acc register -> C Vgpr register */
/* computeStoreVgprs */
v_lshrrev_b32 v4, 6, v[vgprSerial]                 // v4 = v[vgprSerial] / 64
v_lshrrev_b32 v1, 1, v4                            // v1 = v4 / 2
v_mul_lo_u32 v1, 0x20, v1                          // wave coordination offset 1
v_and_b32 v5, 31, v[vgprSerial]                    // v5 = v[vgprSerial] % 32
_v_add_lshl_u32 v1, v5, v1, 0                      // coordination 1 = vwb *(wave_id1 + tid1)
v_mul_lo_u32 v2, v1, s[sgprStrideC1J]              //  offset 1
v_mul_lo_u32 v3, v1, s[sgprStrideD1J]              //  offset 1
v_and_b32 v0, 63, v[vgprSerial]                    // v0 = v[vgprSerial] % 64
v_lshrrev_b32 v0, 5, v0                            // v0 = v0 / 32
v_lshlrev_b32 v0, 0x2, v0                          // thread0 * continuous_output
v_and_b32 v5, 1, v4                                // v5 = v4 % 2
v_mul_lo_u32 v5, 0x20, v5                          // wave coordination offset 0
_v_add_lshl_u32 v0, v5, v0, 0                      // coordination 0 = vwa *(wave_id0 + tid0)
s_mul_i32 s33, 256, s[sgprWorkGroup0]              // wgp0 * MT0
_v_add_u32 v0, s33, v0                             // coord 0 = (tid0/MI_m)*4 + waveG0*MIB_m + MT0*SG0
s_mul_i32 s33, 64, s[sgprWorkGroup1]               // wgp1 * MT1
_v_add_u32 v1, s33, v1                             // coord 1 = (tid0%MI_m) + waveG1*MIB_n + MT1*SG1
/* Store Remap Local Write address */
v_lshrrev_b32 v5, 7, v[vgprSerial]                 // v5 = v[vgprSerial] / 128
v_and_b32 v4, 127, v[vgprSerial]                   // v4 = v[vgprSerial] % 128
v_mul_lo_u32 v13, 0x20, v5                         // coord1 offset of LDS for each Wave
v_and_b32 v5, 0x1f, v[vgprSerial]                  // coord1 offset of LDS for each thread
_v_add_u32 v5, v13, v5                             // coord1 offset in MacroTile
v_mov_b32 v11, 0x104                               // lds stride = MT0 + PAD
v_mul_lo_u32 v9, v5, v11                           // lds coord1 offset = Col-id* lds stride
v_lshrrev_b32 v10, 6, v4                           // v10 = v4 / 64
v_and_b32 v4, 63, v4                               // v4 = v4 % 64
v_lshrrev_b32 v12, 0x5, v4                         // tid / matrixInstN
v_lshlrev_b32 v12, 0x2, v12                        // lds coord0 offset *= 4 (each thread hold 4 element)
v_mad_u32_u24 v12, 32, v10, v12                    // coord0 += waveCoord0 * wave M shape(blockM*MiM)
_v_add_lshl_u32 v7, v9, v12, 0x1                   // local write C address

/* Store Remap Local Read address */
v_lshrrev_b32 v5, 6, v[vgprSerial]                 // v5 = v[vgprSerial] / 64
v_and_b32 v4, 63, v[vgprSerial]                    // v4 = v[vgprSerial] % 64
v_mul_lo_u32 v13, 0x10, v5                         // coord1 offset of LDS for each Wave
v_lshrrev_b32 v10, 0x6, v4                         // tid / nThreadPerCol
_v_add_u32 v6, v13, v10                            // coord1 offset in MacroTile
v_mul_lo_u32 v9, v6, v11                           // lds coord1 offset = Col-id* lds stride
v_and_b32 v12, 0x3f, v4                            // coord0 offset of LDS for each thread
v_lshlrev_b32 v12, 0x2, v12                        // lds coord0 offset *= gwvw (each thread hold gwvw element)
_v_add_lshl_u32 v8, v9, v12, 0x1                   // local read C address

/* Store Remap global write coord0 and coord1 */
v_lshrrev_b32 v5, 7, v[vgprSerial]                 // v5 = v[vgprSerial] / 128
v_and_b32 v4, 127, v[vgprSerial]                   // v4 = v[vgprSerial] % 128
v_mul_lo_u32 v13, 0x20, v5                         // coord1 offset of global memory for each Wave
v_lshrrev_b32 v5, 6, v4                            // v5 = v4 / 64
v_and_b32 v4, 63, v4                               // v4 = v4 % 64
v_mad_u32_u24 v13, 16, v5, v13                     // waveCoord1 += waveCoord0 * MiN / WaveGroupM
v_lshrrev_b32 v10, 0x6, v4                         // tid / nThreadPerCol
_v_add_u32 v6, v13, v10                            // coord1 offset in MacroTile
s_mul_i32 s34, 0x100, s[sgprWorkGroup0]            // s34 = wg0*MT0
_v_add_co_u32 v4, vcc, s34, v12                    // coord0 = coord0 + wg0 * MT0
s_mul_i32 s35, MT1, s[sgprWorkGroup1]              // <- wg1*MT1
_v_add_co_u32 v5, vcc, s35, v6                     // coord1 = tid1*VW + wg1*MT1

s_waitcnt lgkmcnt(0) & vmcnt(0)                    // force waitcnt0
s_barrier //StoreRemap Start
GW_B0_E0_21:

/* edge=0, allocate 2 sgpr. perBatchTmpS=2 perBatchMaskS=0 perElementMaskS=0 elementsPerBatch=16 */
/* optSingleColVgpr=1 optSharedColVgpr=0 optSGPRUsage=BufferLoad_Mask optSrdIncForRow=1 */

/******************************************/
/* Global Write Batch #0 (d1,d0,vc1,vc0) = */
/*    (0,0,0,0:vw4); (0,1,0,0:vw4); (0,2,0,0:vw4); (0,3,0,0:vw4); (0,4,0,0:vw4); (0,5,0,0:vw4); (0,6,0,0:vw4); (0,7,0,0:vw4); (0,8,0,0:vw4); (0,9,0,0:vw4); (0,10,0,0:vw4); (0,11,0,0:vw4); (0,12,0,0:vw4); (0,13,0,0:vw4); (0,14,0,0:vw4); (0,15,0,0:vw4) */
/******************************************/

/* calc coords, apply mask, and issue loads (if necessary) */
/* (d1,vc1,d0,vc0)=(0,0,0,0) */
/* (d1,vc1,d0,vc0)=(0,0,1,0) */
	;; [unrolled: 1-line block ×16, first 2 shown]
_v_add_lshl_u32 v9, v3, v0, 0x1                    // optSingleColVgpr scaleToBpe: sharedAddrVgpr <- cinRowPtr + coord0, scaled by BPE. BSHERE:coord0=0, coord0Vgpr=0
v_accvgpr_read_b32 v[vgprValuC+20], acc0 // copy acc to vreg[0]
v_accvgpr_read_b32 v[vgprValuC+21], acc1 // copy acc to vreg[1]
v_accvgpr_read_b32 v[vgprValuC+22], acc2 // copy acc to vreg[2]
v_accvgpr_read_b32 v[vgprValuC+23], acc3 // copy acc to vreg[3]
v_accvgpr_read_b32 v[vgprValuC+24], acc4 // copy acc to vreg[4]
v_accvgpr_read_b32 v[vgprValuC+25], acc5 // copy acc to vreg[5]
v_accvgpr_read_b32 v[vgprValuC+26], acc6 // copy acc to vreg[6]
v_accvgpr_read_b32 v[vgprValuC+27], acc7 // copy acc to vreg[7]
v_accvgpr_read_b32 v[vgprValuC+28], acc8 // copy acc to vreg[8]
v_accvgpr_read_b32 v[vgprValuC+29], acc9 // copy acc to vreg[9]
v_accvgpr_read_b32 v[vgprValuC+30], acc10 // copy acc to vreg[10]
v_accvgpr_read_b32 v[vgprValuC+31], acc11 // copy acc to vreg[11]
v_accvgpr_read_b32 v[vgprValuC+32], acc12 // copy acc to vreg[12]
v_accvgpr_read_b32 v[vgprValuC+33], acc13 // copy acc to vreg[13]
v_accvgpr_read_b32 v[vgprValuC+34], acc14 // copy acc to vreg[14]
v_accvgpr_read_b32 v[vgprValuC+35], acc15 // copy acc to vreg[15]
v_accvgpr_read_b32 v[vgprValuC+36], acc16 // copy acc to vreg[16]
v_accvgpr_read_b32 v[vgprValuC+37], acc17 // copy acc to vreg[17]
v_accvgpr_read_b32 v[vgprValuC+38], acc18 // copy acc to vreg[18]
v_accvgpr_read_b32 v[vgprValuC+39], acc19 // copy acc to vreg[19]
v_accvgpr_read_b32 v[vgprValuC+40], acc20 // copy acc to vreg[20]
v_accvgpr_read_b32 v[vgprValuC+41], acc21 // copy acc to vreg[21]
v_accvgpr_read_b32 v[vgprValuC+42], acc22 // copy acc to vreg[22]
v_accvgpr_read_b32 v[vgprValuC+43], acc23 // copy acc to vreg[23]
v_accvgpr_read_b32 v[vgprValuC+44], acc24 // copy acc to vreg[24]
v_accvgpr_read_b32 v[vgprValuC+45], acc25 // copy acc to vreg[25]
v_accvgpr_read_b32 v[vgprValuC+46], acc26 // copy acc to vreg[26]
v_accvgpr_read_b32 v[vgprValuC+47], acc27 // copy acc to vreg[27]
v_accvgpr_read_b32 v[vgprValuC+48], acc28 // copy acc to vreg[28]
v_accvgpr_read_b32 v[vgprValuC+49], acc29 // copy acc to vreg[29]
v_accvgpr_read_b32 v[vgprValuC+50], acc30 // copy acc to vreg[30]
v_accvgpr_read_b32 v[vgprValuC+51], acc31 // copy acc to vreg[31]
v_accvgpr_read_b32 v[vgprValuC+52], acc32 // copy acc to vreg[32]
v_accvgpr_read_b32 v[vgprValuC+53], acc33 // copy acc to vreg[33]
v_accvgpr_read_b32 v[vgprValuC+54], acc34 // copy acc to vreg[34]
v_accvgpr_read_b32 v[vgprValuC+55], acc35 // copy acc to vreg[35]
v_accvgpr_read_b32 v[vgprValuC+56], acc36 // copy acc to vreg[36]
v_accvgpr_read_b32 v[vgprValuC+57], acc37 // copy acc to vreg[37]
v_accvgpr_read_b32 v[vgprValuC+58], acc38 // copy acc to vreg[38]
v_accvgpr_read_b32 v[vgprValuC+59], acc39 // copy acc to vreg[39]
v_accvgpr_read_b32 v[vgprValuC+60], acc40 // copy acc to vreg[40]
v_accvgpr_read_b32 v[vgprValuC+61], acc41 // copy acc to vreg[41]
v_accvgpr_read_b32 v[vgprValuC+62], acc42 // copy acc to vreg[42]
v_accvgpr_read_b32 v[vgprValuC+63], acc43 // copy acc to vreg[43]
v_accvgpr_read_b32 v[vgprValuC+64], acc44 // copy acc to vreg[44]
v_accvgpr_read_b32 v[vgprValuC+65], acc45 // copy acc to vreg[45]
v_accvgpr_read_b32 v[vgprValuC+66], acc46 // copy acc to vreg[46]
v_accvgpr_read_b32 v[vgprValuC+67], acc47 // copy acc to vreg[47]
v_accvgpr_read_b32 v[vgprValuC+68], acc48 // copy acc to vreg[48]
v_accvgpr_read_b32 v[vgprValuC+69], acc49 // copy acc to vreg[49]
v_accvgpr_read_b32 v[vgprValuC+70], acc50 // copy acc to vreg[50]
v_accvgpr_read_b32 v[vgprValuC+71], acc51 // copy acc to vreg[51]
v_accvgpr_read_b32 v[vgprValuC+72], acc52 // copy acc to vreg[52]
v_accvgpr_read_b32 v[vgprValuC+73], acc53 // copy acc to vreg[53]
v_accvgpr_read_b32 v[vgprValuC+74], acc54 // copy acc to vreg[54]
v_accvgpr_read_b32 v[vgprValuC+75], acc55 // copy acc to vreg[55]
v_accvgpr_read_b32 v[vgprValuC+76], acc56 // copy acc to vreg[56]
v_accvgpr_read_b32 v[vgprValuC+77], acc57 // copy acc to vreg[57]
v_accvgpr_read_b32 v[vgprValuC+78], acc58 // copy acc to vreg[58]
v_accvgpr_read_b32 v[vgprValuC+79], acc59 // copy acc to vreg[59]
v_accvgpr_read_b32 v[vgprValuC+80], acc60 // copy acc to vreg[60]
v_accvgpr_read_b32 v[vgprValuC+81], acc61 // copy acc to vreg[61]
v_accvgpr_read_b32 v[vgprValuC+82], acc62 // copy acc to vreg[62]
v_accvgpr_read_b32 v[vgprValuC+83], acc63 // copy acc to vreg[63]
s_nop 1                                            // 2 wait states required before reading vgpr

/* apply mask, calc new C and issue writes */
v_mov_b32 v13, 0xffff0000                          // mask for pack two bfloat16 element to 32bit
v_mov_b32 v14, 0x7fff0000                          // fp32 Nan
v_mov_b32 v15, 0x7fff                              // rounding bias for bfloat16
v_cmp_u_f32 s[34:35], v[vgprValuC+20], v[vgprValuC+20] // check Nan
v_bfe_u32 v12, v[vgprValuC+20], 16, 1              // Non-Nan case: store lsb of bf16
v_add3_u32 v12, v[vgprValuC+20], v12, v15          // Non-Nan case: add lsb and the increment for rounding
v_cndmask_b32 v[vgprValuC+20], v12, v14, s[34:35]  // 
v_lshrrev_b32 v[vgprValuC+20], 16, v[vgprValuC+20] // convert C to bf16
v_cmp_u_f32 s[34:35], v[vgprValuC+21], v[vgprValuC+21] // check Nan
v_bfe_u32 v12, v[vgprValuC+21], 16, 1              // Non-Nan case: store lsb of bf16
v_add3_u32 v12, v[vgprValuC+21], v12, v15          // Non-Nan case: add lsb and the increment for rounding
v_cndmask_b32 v[vgprValuC+21], v12, v14, s[34:35]  // 
v_and_or_b32 v20, v[vgprValuC+21], v13, v[vgprValuC+20] // pack two bf16 to dword
v_cmp_u_f32 s[34:35], v[vgprValuC+22], v[vgprValuC+22] // check Nan
v_bfe_u32 v12, v[vgprValuC+22], 16, 1              // Non-Nan case: store lsb of bf16
v_add3_u32 v12, v[vgprValuC+22], v12, v15          // Non-Nan case: add lsb and the increment for rounding
v_cndmask_b32 v[vgprValuC+22], v12, v14, s[34:35]  // 
v_lshrrev_b32 v[vgprValuC+22], 16, v[vgprValuC+22] // convert C to bf16
v_cmp_u_f32 s[34:35], v[vgprValuC+23], v[vgprValuC+23] // check Nan
v_bfe_u32 v12, v[vgprValuC+23], 16, 1              // Non-Nan case: store lsb of bf16
v_add3_u32 v12, v[vgprValuC+23], v12, v15          // Non-Nan case: add lsb and the increment for rounding
v_cndmask_b32 v[vgprValuC+23], v12, v14, s[34:35]  // 
v_and_or_b32 v21, v[vgprValuC+23], v13, v[vgprValuC+22] // pack two bf16 to dword
_ds_store_b64 v7, v[20:21], offset:0               // storeRemap lw
v_cmp_u_f32 s[34:35], v[vgprValuC+24], v[vgprValuC+24] // check Nan
v_bfe_u32 v12, v[vgprValuC+24], 16, 1              // Non-Nan case: store lsb of bf16
v_add3_u32 v12, v[vgprValuC+24], v12, v15          // Non-Nan case: add lsb and the increment for rounding
v_cndmask_b32 v[vgprValuC+24], v12, v14, s[34:35]  // 
v_lshrrev_b32 v[vgprValuC+24], 16, v[vgprValuC+24] // convert C to bf16
v_cmp_u_f32 s[34:35], v[vgprValuC+25], v[vgprValuC+25] // check Nan
v_bfe_u32 v12, v[vgprValuC+25], 16, 1              // Non-Nan case: store lsb of bf16
v_add3_u32 v12, v[vgprValuC+25], v12, v15          // Non-Nan case: add lsb and the increment for rounding
v_cndmask_b32 v[vgprValuC+25], v12, v14, s[34:35]  // 
v_and_or_b32 v24, v[vgprValuC+25], v13, v[vgprValuC+24] // pack two bf16 to dword
v_cmp_u_f32 s[34:35], v[vgprValuC+26], v[vgprValuC+26] // check Nan
v_bfe_u32 v12, v[vgprValuC+26], 16, 1              // Non-Nan case: store lsb of bf16
v_add3_u32 v12, v[vgprValuC+26], v12, v15          // Non-Nan case: add lsb and the increment for rounding
v_cndmask_b32 v[vgprValuC+26], v12, v14, s[34:35]  // 
v_lshrrev_b32 v[vgprValuC+26], 16, v[vgprValuC+26] // convert C to bf16
v_cmp_u_f32 s[34:35], v[vgprValuC+27], v[vgprValuC+27] // check Nan
v_bfe_u32 v12, v[vgprValuC+27], 16, 1              // Non-Nan case: store lsb of bf16
v_add3_u32 v12, v[vgprValuC+27], v12, v15          // Non-Nan case: add lsb and the increment for rounding
v_cndmask_b32 v[vgprValuC+27], v12, v14, s[34:35]  // 
v_and_or_b32 v25, v[vgprValuC+27], v13, v[vgprValuC+26] // pack two bf16 to dword
_ds_store_b64 v7, v[24:25], offset:16              // storeRemap lw
v_cmp_u_f32 s[34:35], v[vgprValuC+28], v[vgprValuC+28] // check Nan
v_bfe_u32 v12, v[vgprValuC+28], 16, 1              // Non-Nan case: store lsb of bf16
v_add3_u32 v12, v[vgprValuC+28], v12, v15          // Non-Nan case: add lsb and the increment for rounding
v_cndmask_b32 v[vgprValuC+28], v12, v14, s[34:35]  // 
v_lshrrev_b32 v[vgprValuC+28], 16, v[vgprValuC+28] // convert C to bf16
v_cmp_u_f32 s[34:35], v[vgprValuC+29], v[vgprValuC+29] // check Nan
v_bfe_u32 v12, v[vgprValuC+29], 16, 1              // Non-Nan case: store lsb of bf16
v_add3_u32 v12, v[vgprValuC+29], v12, v15          // Non-Nan case: add lsb and the increment for rounding
v_cndmask_b32 v[vgprValuC+29], v12, v14, s[34:35]  // 
v_and_or_b32 v28, v[vgprValuC+29], v13, v[vgprValuC+28] // pack two bf16 to dword
v_cmp_u_f32 s[34:35], v[vgprValuC+30], v[vgprValuC+30] // check Nan
v_bfe_u32 v12, v[vgprValuC+30], 16, 1              // Non-Nan case: store lsb of bf16
v_add3_u32 v12, v[vgprValuC+30], v12, v15          // Non-Nan case: add lsb and the increment for rounding
v_cndmask_b32 v[vgprValuC+30], v12, v14, s[34:35]  // 
v_lshrrev_b32 v[vgprValuC+30], 16, v[vgprValuC+30] // convert C to bf16
v_cmp_u_f32 s[34:35], v[vgprValuC+31], v[vgprValuC+31] // check Nan
v_bfe_u32 v12, v[vgprValuC+31], 16, 1              // Non-Nan case: store lsb of bf16
v_add3_u32 v12, v[vgprValuC+31], v12, v15          // Non-Nan case: add lsb and the increment for rounding
v_cndmask_b32 v[vgprValuC+31], v12, v14, s[34:35]  // 
v_and_or_b32 v29, v[vgprValuC+31], v13, v[vgprValuC+30] // pack two bf16 to dword
_ds_store_b64 v7, v[28:29], offset:32              // storeRemap lw
	;; [unrolled: 21-line block ×3, first 2 shown]
v_cmp_u_f32 s[34:35], v[vgprValuC+36], v[vgprValuC+36] // check Nan
v_bfe_u32 v12, v[vgprValuC+36], 16, 1              // Non-Nan case: store lsb of bf16
v_add3_u32 v12, v[vgprValuC+36], v12, v15          // Non-Nan case: add lsb and the increment for rounding
v_cndmask_b32 v[vgprValuC+36], v12, v14, s[34:35]  // 
v_lshrrev_b32 v[vgprValuC+36], 16, v[vgprValuC+36] // convert C to bf16
v_cmp_u_f32 s[34:35], v[vgprValuC+37], v[vgprValuC+37] // check Nan
v_bfe_u32 v12, v[vgprValuC+37], 16, 1              // Non-Nan case: store lsb of bf16
v_add3_u32 v12, v[vgprValuC+37], v12, v15          // Non-Nan case: add lsb and the increment for rounding
v_cndmask_b32 v[vgprValuC+37], v12, v14, s[34:35]  // 
v_and_or_b32 v36, v[vgprValuC+37], v13, v[vgprValuC+36] // pack two bf16 to dword
v_cmp_u_f32 s[34:35], v[vgprValuC+38], v[vgprValuC+38] // check Nan
v_bfe_u32 v12, v[vgprValuC+38], 16, 1              // Non-Nan case: store lsb of bf16
v_add3_u32 v12, v[vgprValuC+38], v12, v15          // Non-Nan case: add lsb and the increment for rounding
v_cndmask_b32 v[vgprValuC+38], v12, v14, s[34:35]  // 
v_lshrrev_b32 v[vgprValuC+38], 16, v[vgprValuC+38] // convert C to bf16
v_cmp_u_f32 s[34:35], v[vgprValuC+39], v[vgprValuC+39] // check Nan
v_bfe_u32 v12, v[vgprValuC+39], 16, 1              // Non-Nan case: store lsb of bf16
v_add3_u32 v12, v[vgprValuC+39], v12, v15          // Non-Nan case: add lsb and the increment for rounding
v_cndmask_b32 v[vgprValuC+39], v12, v14, s[34:35]  // 
v_and_or_b32 v37, v[vgprValuC+39], v13, v[vgprValuC+38] // pack two bf16 to dword
_ds_store_b64 v7, v[36:37], offset:128             // storeRemap lw
v_cmp_u_f32 s[34:35], v[vgprValuC+40], v[vgprValuC+40] // check Nan
v_bfe_u32 v12, v[vgprValuC+40], 16, 1              // Non-Nan case: store lsb of bf16
v_add3_u32 v12, v[vgprValuC+40], v12, v15          // Non-Nan case: add lsb and the increment for rounding
v_cndmask_b32 v[vgprValuC+40], v12, v14, s[34:35]  // 
v_lshrrev_b32 v[vgprValuC+40], 16, v[vgprValuC+40] // convert C to bf16
v_cmp_u_f32 s[34:35], v[vgprValuC+41], v[vgprValuC+41] // check Nan
v_bfe_u32 v12, v[vgprValuC+41], 16, 1              // Non-Nan case: store lsb of bf16
v_add3_u32 v12, v[vgprValuC+41], v12, v15          // Non-Nan case: add lsb and the increment for rounding
v_cndmask_b32 v[vgprValuC+41], v12, v14, s[34:35]  // 
v_and_or_b32 v40, v[vgprValuC+41], v13, v[vgprValuC+40] // pack two bf16 to dword
v_cmp_u_f32 s[34:35], v[vgprValuC+42], v[vgprValuC+42] // check Nan
v_bfe_u32 v12, v[vgprValuC+42], 16, 1              // Non-Nan case: store lsb of bf16
v_add3_u32 v12, v[vgprValuC+42], v12, v15          // Non-Nan case: add lsb and the increment for rounding
v_cndmask_b32 v[vgprValuC+42], v12, v14, s[34:35]  // 
v_lshrrev_b32 v[vgprValuC+42], 16, v[vgprValuC+42] // convert C to bf16
v_cmp_u_f32 s[34:35], v[vgprValuC+43], v[vgprValuC+43] // check Nan
v_bfe_u32 v12, v[vgprValuC+43], 16, 1              // Non-Nan case: store lsb of bf16
v_add3_u32 v12, v[vgprValuC+43], v12, v15          // Non-Nan case: add lsb and the increment for rounding
v_cndmask_b32 v[vgprValuC+43], v12, v14, s[34:35]  // 
v_and_or_b32 v41, v[vgprValuC+43], v13, v[vgprValuC+42] // pack two bf16 to dword
_ds_store_b64 v7, v[40:41], offset:144             // storeRemap lw
	;; [unrolled: 21-line block ×12, first 2 shown]

/* Handle local read and global write */
s_waitcnt lgkmcnt(0)                               // wait for LDS write
s_barrier //wait all lds write finished

_ds_load_b64 v[18:19], v8, offset:0                // storeRemap lr
_ds_load_b64 v[20:21], v8, offset:520              // storeRemap lr
_ds_load_b64 v[22:23], v8, offset:1040             // storeRemap lr
_ds_load_b64 v[24:25], v8, offset:1560             // storeRemap lr
	;; [unrolled: 1-line block ×14, first 2 shown]

v_mov_b32 v17, v6                                  // coord1
v_mul_lo_u32 v17, v17, s[sgprStrideD1J]            // coord1 offset =  coord1 * StrideD
_v_add_lshl_u32 v17, v17, v4, 0x1                  // global write D address
s_waitcnt lgkmcnt(15)                              // wait for LDS read
_buffer_store_b64 v[18:19], v17, s[sgprSrdD:sgprSrdD+3], 0, offen, offset:0 // store D
_v_add_u32 v17, v6, 1                              // coord1 += nColPerLoad
v_mul_lo_u32 v17, v17, s[sgprStrideD1J]            // coord1 offset =  coord1 * StrideD
_v_add_lshl_u32 v17, v17, v4, 0x1                  // global write D address
s_waitcnt lgkmcnt(14)                              // wait for LDS read
_buffer_store_b64 v[20:21], v17, s[sgprSrdD:sgprSrdD+3], 0, offen, offset:0 // store D
_v_add_u32 v17, v6, 2                              // coord1 += nColPerLoad
	;; [unrolled: 5-line block ×6, first 2 shown]
v_mul_lo_u32 v17, v17, s[sgprStrideD1J]            // coord1 offset =  coord1 * StrideD
_v_add_lshl_u32 v17, v17, v4, 0x1                  // global write D address
s_waitcnt lgkmcnt(9)                               // wait for LDS read
_buffer_store_b64 v[30:31], v17, s[sgprSrdD:sgprSrdD+3], 0, offen, offset:0 // store D
_v_add_u32 v17, v6, 7                              // coord1 += nColPerLoad
v_mul_lo_u32 v17, v17, s[sgprStrideD1J]            // coord1 offset =  coord1 * StrideD
_v_add_lshl_u32 v17, v17, v4, 0x1                  // global write D address
s_waitcnt lgkmcnt(8)                               // wait for LDS read
_buffer_store_b64 v[32:33], v17, s[sgprSrdD:sgprSrdD+3], 0, offen, offset:0 // store D
_v_add_u32 v17, v6, 8                              // coord1 += nColPerLoad
	;; [unrolled: 5-line block ×3, first 2 shown]
v_mul_lo_u32 v17, v17, s[sgprStrideD1J]            // coord1 offset =  coord1 * StrideD
_v_add_lshl_u32 v17, v17, v4, 0x1                  // global write D address
s_waitcnt lgkmcnt(6)                               // wait for LDS read
_buffer_store_b64 v[36:37], v17, s[sgprSrdD:sgprSrdD+3], 0, offen, offset:0 // store D
_v_add_u32 v17, v6, 10                             // coord1 += nColPerLoad
v_mul_lo_u32 v17, v17, s[sgprStrideD1J]            // coord1 offset =  coord1 * StrideD
_v_add_lshl_u32 v17, v17, v4, 0x1                  // global write D address
s_waitcnt lgkmcnt(5)                               // wait for LDS read
_buffer_store_b64 v[38:39], v17, s[sgprSrdD:sgprSrdD+3], 0, offen, offset:0 // store D
_v_add_u32 v17, v6, 11                             // coord1 += nColPerLoad
	;; [unrolled: 5-line block ×6, first 2 shown]
v_mul_lo_u32 v17, v17, s[sgprStrideD1J]            // coord1 offset =  coord1 * StrideD
_v_add_lshl_u32 v17, v17, v4, 0x1                  // global write D address
s_waitcnt lgkmcnt(0)                               // wait for LDS read
_buffer_store_b64 v[48:49], v17, s[sgprSrdD:sgprSrdD+3], 0, offen, offset:0 // store D

s_barrier //wait all lds read finished
s_nop 0                                            // 1 wait state required when next inst writes vgprs held by previous dwordx4 store inst
s_branch label_GW_End_23                           // jump to end
label_GW_End_23:

s_endpgm                                           // Kernel End
OptNLL_End_17:


/******************************************/
/* Ord. NoLoadLoop - Begin                                      */
/******************************************/


	;; [unrolled: 1-line block ×4, first 2 shown]
/* iter 0 (last unrolled loop) */

/*  grEndMfmaIndex:0, lwStartMfmaIndex:59, lwEndMfmaIndex:59  */
/*  numMfmaForLR:2, barrierMfmaIndex:61 */
/*  mfmaIndex:0  */
s_waitcnt lgkmcnt(0)                               // lgkmcnt=0 vmcnt=-1wait for prior local read local write old=0, new=0 newLW=0 newLR=0
v_mfma_f32_32x32x4bf16 a[0+0:15+0], v[vgprValuA_X0_I0+0+0+0], v[vgprValuB_X0_I0+0+0+0], a[0:15]
/*  mfmaIndex:1  */
_ds_load_b64 v[vgprValuA_X2_I0+0:vgprValuA_X2_I0+0+1], v[vgprLocalReadAddrA] offset:16 // L -> Reg lro=8 swapByteOffset=0 ti=64 vIdx=0 rIdx=0 oIdx=0 buffer=2 iui=0
_ds_load_b64 v[vgprValuB_X2_I0+0:vgprValuB_X2_I0+0+1], v[vgprLocalReadAddrB] offset:16 // L -> Reg lro=8 swapByteOffset=0 ti=64 vIdx=0 rIdx=0 oIdx=0 buffer=2 iui=0
_ds_load_b64 v[vgprValuA_X2_I0+2:vgprValuA_X2_I0+2+1], v[vgprLocalReadAddrA] offset:8720 // L -> Reg lro=8 swapByteOffset=0 ti=64 vIdx=1 rIdx=0 oIdx=0 buffer=2 iui=0
_ds_load_b64 v[vgprValuA_X2_I0+4:vgprValuA_X2_I0+4+1], v[vgprLocalReadAddrA] offset:17424 // L -> Reg lro=8 swapByteOffset=0 ti=64 vIdx=2 rIdx=0 oIdx=0 buffer=2 iui=0
	;; [unrolled: 1-line block ×3, first 2 shown]
/* localReadsVacancy: latencyLeft 3 */
_ds_load_b64 v[vgprValuA_X4_I0+0:vgprValuA_X4_I0+0+1], v[vgprLocalReadAddrA] offset:32 // L -> Reg lro=16 swapByteOffset=0 ti=64 vIdx=0 rIdx=0 oIdx=0 buffer=4 iui=0
v_mfma_f32_32x32x4bf16 a[16+0:31+0], v[vgprValuA_X0_I0+2+0+0], v[vgprValuB_X0_I0+0+0+0], a[16:31]
/*  mfmaIndex:2  */
/* localReadsVacancy: latencyLeft 13 */
_ds_load_b64 v[vgprValuB_X4_I0+0:vgprValuB_X4_I0+0+1], v[vgprLocalReadAddrB] offset:32 // L -> Reg lro=16 swapByteOffset=0 ti=64 vIdx=0 rIdx=0 oIdx=0 buffer=4 iui=0
_ds_load_b64 v[vgprValuA_X4_I0+2:vgprValuA_X4_I0+2+1], v[vgprLocalReadAddrA] offset:8736 // L -> Reg lro=16 swapByteOffset=0 ti=64 vIdx=1 rIdx=0 oIdx=0 buffer=4 iui=0
_ds_load_b64 v[vgprValuA_X4_I0+4:vgprValuA_X4_I0+4+1], v[vgprLocalReadAddrA] offset:17440 // L -> Reg lro=16 swapByteOffset=0 ti=64 vIdx=2 rIdx=0 oIdx=0 buffer=4 iui=0
	;; [unrolled: 1-line block ×3, first 2 shown]
_ds_load_b64 v[vgprValuA_X6_I0+0:vgprValuA_X6_I0+0+1], v[vgprLocalReadAddrA] offset:48 // L -> Reg lro=24 swapByteOffset=0 ti=64 vIdx=0 rIdx=0 oIdx=0 buffer=6 iui=0
_ds_load_b64 v[vgprValuB_X6_I0+0:vgprValuB_X6_I0+0+1], v[vgprLocalReadAddrB] offset:48 // L -> Reg lro=24 swapByteOffset=0 ti=64 vIdx=0 rIdx=0 oIdx=0 buffer=6 iui=0
v_mfma_f32_32x32x4bf16 a[32+0:47+0], v[vgprValuA_X0_I0+4+0+0], v[vgprValuB_X0_I0+0+0+0], a[32:47]
/*  mfmaIndex:3  */
/* localReadsVacancy: latencyLeft 13 */
_ds_load_b64 v[vgprValuA_X6_I0+2:vgprValuA_X6_I0+2+1], v[vgprLocalReadAddrA] offset:8752 // L -> Reg lro=24 swapByteOffset=0 ti=64 vIdx=1 rIdx=0 oIdx=0 buffer=6 iui=0
_ds_load_b64 v[vgprValuA_X6_I0+4:vgprValuA_X6_I0+4+1], v[vgprLocalReadAddrA] offset:17456 // L -> Reg lro=24 swapByteOffset=0 ti=64 vIdx=2 rIdx=0 oIdx=0 buffer=6 iui=0
	;; [unrolled: 1-line block ×3, first 2 shown]
_ds_load_b64 v[vgprValuA_X8_I0+0:vgprValuA_X8_I0+0+1], v[vgprLocalReadAddrA] offset:64 // L -> Reg lro=32 swapByteOffset=0 ti=64 vIdx=0 rIdx=0 oIdx=0 buffer=8 iui=0
_ds_load_b64 v[vgprValuB_X8_I0+0:vgprValuB_X8_I0+0+1], v[vgprLocalReadAddrB] offset:64 // L -> Reg lro=32 swapByteOffset=0 ti=64 vIdx=0 rIdx=0 oIdx=0 buffer=8 iui=0
_ds_load_b64 v[vgprValuA_X8_I0+2:vgprValuA_X8_I0+2+1], v[vgprLocalReadAddrA] offset:8768 // L -> Reg lro=32 swapByteOffset=0 ti=64 vIdx=1 rIdx=0 oIdx=0 buffer=8 iui=0
v_mfma_f32_32x32x4bf16 a[48+0:63+0], v[vgprValuA_X0_I0+6+0+0], v[vgprValuB_X0_I0+0+0+0], a[48:63]
/* numPrefetchIter=0 */
/* dataAtIterA=-1 numReadsIterA=1 skipReadsIterA=1 readsPerIterA=4 */
/* dataAtIterB=-1 numReadsIterB=1 skipReadsIterB=1 readsPerIterB=1 */


/* iter 1 (last unrolled loop) */

/*  grEndMfmaIndex:0, lwStartMfmaIndex:59, lwEndMfmaIndex:59  */
/*  numMfmaForLR:2, barrierMfmaIndex:61 */
/*  mfmaIndex:4  */
/* localReadsVacancy: latencyLeft 13 */
_ds_load_b64 v[vgprValuA_X8_I0+4:vgprValuA_X8_I0+4+1], v[vgprLocalReadAddrA] offset:17472 // L -> Reg lro=32 swapByteOffset=0 ti=64 vIdx=2 rIdx=0 oIdx=0 buffer=8 iui=0
_ds_load_b64 v[vgprValuA_X8_I0+6:vgprValuA_X8_I0+6+1], v[vgprLocalReadAddrA] offset:26176 // L -> Reg lro=32 swapByteOffset=0 ti=64 vIdx=3 rIdx=0 oIdx=0 buffer=8 iui=0
_ds_load_b64 v[vgprValuA_X10_I0+0:vgprValuA_X10_I0+0+1], v[vgprLocalReadAddrA] offset:80 // L -> Reg lro=40 swapByteOffset=0 ti=64 vIdx=0 rIdx=0 oIdx=0 buffer=10 iui=0
_ds_load_b64 v[vgprValuB_X10_I0+0:vgprValuB_X10_I0+0+1], v[vgprLocalReadAddrB] offset:80 // L -> Reg lro=40 swapByteOffset=0 ti=64 vIdx=0 rIdx=0 oIdx=0 buffer=10 iui=0
_ds_load_b64 v[vgprValuA_X10_I0+2:vgprValuA_X10_I0+2+1], v[vgprLocalReadAddrA] offset:8784 // L -> Reg lro=40 swapByteOffset=0 ti=64 vIdx=1 rIdx=0 oIdx=0 buffer=10 iui=0
_ds_load_b64 v[vgprValuA_X10_I0+4:vgprValuA_X10_I0+4+1], v[vgprLocalReadAddrA] offset:17488 // L -> Reg lro=40 swapByteOffset=0 ti=64 vIdx=2 rIdx=0 oIdx=0 buffer=10 iui=0
s_waitcnt lgkmcnt(15)                              // lgkmcnt=0 vmcnt=-1wait for prior local read local write old=5, new=10 newLW=0 newLR=5
v_mfma_f32_32x32x4bf16 a[0+0:15+0], v[vgprValuA_X0_I0+0+1+0], v[vgprValuB_X0_I0+0+1+0], a[0:15]
/*  mfmaIndex:5  */
/* localReadsVacancy: latencyLeft 13 */
_ds_load_b64 v[vgprValuA_X10_I0+6:vgprValuA_X10_I0+6+1], v[vgprLocalReadAddrA] offset:26192 // L -> Reg lro=40 swapByteOffset=0 ti=64 vIdx=3 rIdx=0 oIdx=0 buffer=10 iui=0
_ds_load_b64 v[vgprValuA_X12_I0+0:vgprValuA_X12_I0+0+1], v[vgprLocalReadAddrA] offset:96 // L -> Reg lro=48 swapByteOffset=0 ti=64 vIdx=0 rIdx=0 oIdx=0 buffer=12 iui=0
_ds_load_b64 v[vgprValuB_X12_I0+0:vgprValuB_X12_I0+0+1], v[vgprLocalReadAddrB] offset:96 // L -> Reg lro=48 swapByteOffset=0 ti=64 vIdx=0 rIdx=0 oIdx=0 buffer=12 iui=0
_ds_load_b64 v[vgprValuA_X12_I0+2:vgprValuA_X12_I0+2+1], v[vgprLocalReadAddrA] offset:8800 // L -> Reg lro=48 swapByteOffset=0 ti=64 vIdx=1 rIdx=0 oIdx=0 buffer=12 iui=0
_ds_load_b64 v[vgprValuA_X12_I0+4:vgprValuA_X12_I0+4+1], v[vgprLocalReadAddrA] offset:17504 // L -> Reg lro=48 swapByteOffset=0 ti=64 vIdx=2 rIdx=0 oIdx=0 buffer=12 iui=0
	;; [unrolled: 1-line block ×3, first 2 shown]
v_mfma_f32_32x32x4bf16 a[16+0:31+0], v[vgprValuA_X0_I0+2+1+0], v[vgprValuB_X0_I0+0+1+0], a[16:31]
/*  mfmaIndex:6  */
/* localReadsVacancy: latencyLeft 13 */
_ds_load_b64 v[vgprValuA_X14_I0+0:vgprValuA_X14_I0+0+1], v[vgprLocalReadAddrA] offset:112 // L -> Reg lro=56 swapByteOffset=0 ti=64 vIdx=0 rIdx=0 oIdx=0 buffer=14 iui=0
_ds_load_b64 v[vgprValuB_X14_I0+0:vgprValuB_X14_I0+0+1], v[vgprLocalReadAddrB] offset:112 // L -> Reg lro=56 swapByteOffset=0 ti=64 vIdx=0 rIdx=0 oIdx=0 buffer=14 iui=0
_ds_load_b64 v[vgprValuA_X14_I0+2:vgprValuA_X14_I0+2+1], v[vgprLocalReadAddrA] offset:8816 // L -> Reg lro=56 swapByteOffset=0 ti=64 vIdx=1 rIdx=0 oIdx=0 buffer=14 iui=0
_ds_load_b64 v[vgprValuA_X14_I0+4:vgprValuA_X14_I0+4+1], v[vgprLocalReadAddrA] offset:17520 // L -> Reg lro=56 swapByteOffset=0 ti=64 vIdx=2 rIdx=0 oIdx=0 buffer=14 iui=0
	;; [unrolled: 1-line block ×3, first 2 shown]
v_mfma_f32_32x32x4bf16 a[32+0:47+0], v[vgprValuA_X0_I0+4+1+0], v[vgprValuB_X0_I0+0+1+0], a[32:47]
/*  mfmaIndex:7  */
/* localReadsVacancy: latencyLeft 13 */
v_mfma_f32_32x32x4bf16 a[48+0:63+0], v[vgprValuA_X0_I0+6+1+0], v[vgprValuB_X0_I0+0+1+0], a[48:63]
/* numPrefetchIter=0 */
/* dataAtIterA=-1 numReadsIterA=2 skipReadsIterA=2 readsPerIterA=4 */
/* dataAtIterB=-1 numReadsIterB=2 skipReadsIterB=2 readsPerIterB=1 */


/* iter 2 (last unrolled loop) */

/*  grEndMfmaIndex:0, lwStartMfmaIndex:59, lwEndMfmaIndex:59  */
/*  numMfmaForLR:2, barrierMfmaIndex:61 */
/*  mfmaIndex:8  */
/* localReadsVacancy: latencyLeft 13 */
s_waitcnt lgkmcnt(15)                              // lgkmcnt=0 vmcnt=-1wait for prior local read local write old=0, new=5 newLW=0 newLR=5
v_mfma_f32_32x32x4bf16 a[0+0:15+0], v[vgprValuA_X2_I0+0+0+0], v[vgprValuB_X2_I0+0+0+0], a[0:15]
/*  mfmaIndex:9  */
/* localReadsVacancy: latencyLeft 13 */
v_mfma_f32_32x32x4bf16 a[16+0:31+0], v[vgprValuA_X2_I0+2+0+0], v[vgprValuB_X2_I0+0+0+0], a[16:31]
/*  mfmaIndex:10  */
/* localReadsVacancy: latencyLeft 13 */
	;; [unrolled: 3-line block ×3, first 2 shown]
v_mfma_f32_32x32x4bf16 a[48+0:63+0], v[vgprValuA_X2_I0+6+0+0], v[vgprValuB_X2_I0+0+0+0], a[48:63]
/* numPrefetchIter=0 */
/* dataAtIterA=0 numReadsIterA=3 skipReadsIterA=2 readsPerIterA=4 */
/* dataAtIterB=0 numReadsIterB=3 skipReadsIterB=2 readsPerIterB=1 */


/* iter 3 (last unrolled loop) */

/*  grEndMfmaIndex:0, lwStartMfmaIndex:59, lwEndMfmaIndex:59  */
/*  numMfmaForLR:2, barrierMfmaIndex:61 */
/*  mfmaIndex:12  */
/* localReadsVacancy: latencyLeft 13 */
s_waitcnt lgkmcnt(15)                              // lgkmcnt=0 vmcnt=-1wait for prior local read local write old=2, new=12 newLW=0 newLR=10
v_mfma_f32_32x32x4bf16 a[0+0:15+0], v[vgprValuA_X2_I0+0+1+0], v[vgprValuB_X2_I0+0+1+0], a[0:15]
/*  mfmaIndex:13  */
/* localReadsVacancy: latencyLeft 13 */
v_mfma_f32_32x32x4bf16 a[16+0:31+0], v[vgprValuA_X2_I0+2+1+0], v[vgprValuB_X2_I0+0+1+0], a[16:31]
/*  mfmaIndex:14  */
/* localReadsVacancy: latencyLeft 13 */
	;; [unrolled: 3-line block ×3, first 2 shown]
v_mfma_f32_32x32x4bf16 a[48+0:63+0], v[vgprValuA_X2_I0+6+1+0], v[vgprValuB_X2_I0+0+1+0], a[48:63]
/* numPrefetchIter=0 */
/* dataAtIterA=0 numReadsIterA=4 skipReadsIterA=3 readsPerIterA=4 */
/* dataAtIterB=0 numReadsIterB=4 skipReadsIterB=3 readsPerIterB=1 */


/* iter 4 (last unrolled loop) */

/*  grEndMfmaIndex:0, lwStartMfmaIndex:59, lwEndMfmaIndex:59  */
/*  numMfmaForLR:2, barrierMfmaIndex:61 */
/*  mfmaIndex:16  */
/* localReadsVacancy: latencyLeft 13 */
s_waitcnt lgkmcnt(15)                              // lgkmcnt=0 vmcnt=-1wait for prior local read local write old=5, new=15 newLW=0 newLR=10
v_mfma_f32_32x32x4bf16 a[0+0:15+0], v[vgprValuA_X4_I0+0+0+0], v[vgprValuB_X4_I0+0+0+0], a[0:15]
/*  mfmaIndex:17  */
/* localReadsVacancy: latencyLeft 13 */
v_mfma_f32_32x32x4bf16 a[16+0:31+0], v[vgprValuA_X4_I0+2+0+0], v[vgprValuB_X4_I0+0+0+0], a[16:31]
/*  mfmaIndex:18  */
/* localReadsVacancy: latencyLeft 13 */
	;; [unrolled: 3-line block ×3, first 2 shown]
v_mfma_f32_32x32x4bf16 a[48+0:63+0], v[vgprValuA_X4_I0+6+0+0], v[vgprValuB_X4_I0+0+0+0], a[48:63]
/* numPrefetchIter=0 */
/* dataAtIterA=1 numReadsIterA=5 skipReadsIterA=3 readsPerIterA=4 */
/* dataAtIterB=1 numReadsIterB=5 skipReadsIterB=3 readsPerIterB=1 */


/* iter 5 (last unrolled loop) */

/*  grEndMfmaIndex:0, lwStartMfmaIndex:59, lwEndMfmaIndex:59  */
/*  numMfmaForLR:2, barrierMfmaIndex:61 */
/*  mfmaIndex:20  */
/* localReadsVacancy: latencyLeft 13 */
s_waitcnt lgkmcnt(15)                              // lgkmcnt=0 vmcnt=-1wait for prior local read local write old=5, new=20 newLW=0 newLR=15
v_mfma_f32_32x32x4bf16 a[0+0:15+0], v[vgprValuA_X4_I0+0+1+0], v[vgprValuB_X4_I0+0+1+0], a[0:15]
/*  mfmaIndex:21  */
/* localReadsVacancy: latencyLeft 13 */
v_mfma_f32_32x32x4bf16 a[16+0:31+0], v[vgprValuA_X4_I0+2+1+0], v[vgprValuB_X4_I0+0+1+0], a[16:31]
/*  mfmaIndex:22  */
/* localReadsVacancy: latencyLeft 13 */
	;; [unrolled: 3-line block ×3, first 2 shown]
v_mfma_f32_32x32x4bf16 a[48+0:63+0], v[vgprValuA_X4_I0+6+1+0], v[vgprValuB_X4_I0+0+1+0], a[48:63]
/* numPrefetchIter=0 */
/* dataAtIterA=1 numReadsIterA=6 skipReadsIterA=4 readsPerIterA=4 */
/* dataAtIterB=1 numReadsIterB=6 skipReadsIterB=4 readsPerIterB=1 */


/* iter 6 (last unrolled loop) */

/*  grEndMfmaIndex:0, lwStartMfmaIndex:59, lwEndMfmaIndex:59  */
/*  numMfmaForLR:2, barrierMfmaIndex:61 */
/*  mfmaIndex:24  */
/* localReadsVacancy: latencyLeft 13 */
s_waitcnt lgkmcnt(15)                              // lgkmcnt=0 vmcnt=-1wait for prior local read local write old=5, new=20 newLW=0 newLR=15
v_mfma_f32_32x32x4bf16 a[0+0:15+0], v[vgprValuA_X6_I0+0+0+0], v[vgprValuB_X6_I0+0+0+0], a[0:15]
/*  mfmaIndex:25  */
/* localReadsVacancy: latencyLeft 13 */
v_mfma_f32_32x32x4bf16 a[16+0:31+0], v[vgprValuA_X6_I0+2+0+0], v[vgprValuB_X6_I0+0+0+0], a[16:31]
/*  mfmaIndex:26  */
/* localReadsVacancy: latencyLeft 13 */
v_mfma_f32_32x32x4bf16 a[32+0:47+0], v[vgprValuA_X6_I0+4+0+0], v[vgprValuB_X6_I0+0+0+0], a[32:47]
/*  mfmaIndex:27  */
/* localReadsVacancy: latencyLeft 13 */
v_mfma_f32_32x32x4bf16 a[48+0:63+0], v[vgprValuA_X6_I0+6+0+0], v[vgprValuB_X6_I0+0+0+0], a[48:63]
/* numPrefetchIter=0 */
/* dataAtIterA=2 numReadsIterA=7 skipReadsIterA=4 readsPerIterA=4 */
/* dataAtIterB=2 numReadsIterB=7 skipReadsIterB=4 readsPerIterB=1 */


/* iter 7 (last unrolled loop) */

/*  grEndMfmaIndex:0, lwStartMfmaIndex:59, lwEndMfmaIndex:59  */
/*  numMfmaForLR:2, barrierMfmaIndex:61 */
/*  mfmaIndex:28  */
/* localReadsVacancy: latencyLeft 13 */
s_waitcnt lgkmcnt(15)                              // lgkmcnt=0 vmcnt=-1wait for prior local read local write old=0, new=20 newLW=0 newLR=20
v_mfma_f32_32x32x4bf16 a[0+0:15+0], v[vgprValuA_X6_I0+0+1+0], v[vgprValuB_X6_I0+0+1+0], a[0:15]
/*  mfmaIndex:29  */
/* localReadsVacancy: latencyLeft 13 */
v_mfma_f32_32x32x4bf16 a[16+0:31+0], v[vgprValuA_X6_I0+2+1+0], v[vgprValuB_X6_I0+0+1+0], a[16:31]
/*  mfmaIndex:30  */
/* localReadsVacancy: latencyLeft 13 */
	;; [unrolled: 3-line block ×3, first 2 shown]
v_mfma_f32_32x32x4bf16 a[48+0:63+0], v[vgprValuA_X6_I0+6+1+0], v[vgprValuB_X6_I0+0+1+0], a[48:63]
/* numPrefetchIter=0 */
/* dataAtIterA=2 numReadsIterA=7 skipReadsIterA=4 readsPerIterA=4 */
/* dataAtIterB=2 numReadsIterB=7 skipReadsIterB=4 readsPerIterB=1 */


/* iter 8 (last unrolled loop) */

/*  grEndMfmaIndex:0, lwStartMfmaIndex:59, lwEndMfmaIndex:59  */
/*  numMfmaForLR:2, barrierMfmaIndex:61 */
/*  mfmaIndex:32  */
/* localReadsVacancy: latencyLeft 13 */
s_waitcnt lgkmcnt(15)                              // lgkmcnt=0 vmcnt=-1wait for prior local read local write old=0, new=15 newLW=0 newLR=15
v_mfma_f32_32x32x4bf16 a[0+0:15+0], v[vgprValuA_X8_I0+0+0+0], v[vgprValuB_X8_I0+0+0+0], a[0:15]
/*  mfmaIndex:33  */
/* localReadsVacancy: latencyLeft 13 */
v_mfma_f32_32x32x4bf16 a[16+0:31+0], v[vgprValuA_X8_I0+2+0+0], v[vgprValuB_X8_I0+0+0+0], a[16:31]
/*  mfmaIndex:34  */
/* localReadsVacancy: latencyLeft 13 */
v_mfma_f32_32x32x4bf16 a[32+0:47+0], v[vgprValuA_X8_I0+4+0+0], v[vgprValuB_X8_I0+0+0+0], a[32:47]
/*  mfmaIndex:35  */
/* localReadsVacancy: latencyLeft 13 */
v_mfma_f32_32x32x4bf16 a[48+0:63+0], v[vgprValuA_X8_I0+6+0+0], v[vgprValuB_X8_I0+0+0+0], a[48:63]
/* numPrefetchIter=0 */
/* dataAtIterA=3 numReadsIterA=7 skipReadsIterA=3 readsPerIterA=4 */
/* dataAtIterB=3 numReadsIterB=7 skipReadsIterB=3 readsPerIterB=1 */


/* iter 9 (last unrolled loop) */

/*  grEndMfmaIndex:0, lwStartMfmaIndex:59, lwEndMfmaIndex:59  */
/*  numMfmaForLR:2, barrierMfmaIndex:61 */
/*  mfmaIndex:36  */
/* localReadsVacancy: latencyLeft 13 */
s_waitcnt lgkmcnt(15)                              // lgkmcnt=0 vmcnt=-1wait for prior local read local write old=0, new=15 newLW=0 newLR=15
v_mfma_f32_32x32x4bf16 a[0+0:15+0], v[vgprValuA_X8_I0+0+1+0], v[vgprValuB_X8_I0+0+1+0], a[0:15]
/*  mfmaIndex:37  */
/* localReadsVacancy: latencyLeft 13 */
v_mfma_f32_32x32x4bf16 a[16+0:31+0], v[vgprValuA_X8_I0+2+1+0], v[vgprValuB_X8_I0+0+1+0], a[16:31]
/*  mfmaIndex:38  */
/* localReadsVacancy: latencyLeft 13 */
	;; [unrolled: 3-line block ×3, first 2 shown]
v_mfma_f32_32x32x4bf16 a[48+0:63+0], v[vgprValuA_X8_I0+6+1+0], v[vgprValuB_X8_I0+0+1+0], a[48:63]
/* numPrefetchIter=0 */
/* dataAtIterA=3 numReadsIterA=7 skipReadsIterA=3 readsPerIterA=4 */
/* dataAtIterB=3 numReadsIterB=7 skipReadsIterB=3 readsPerIterB=1 */


/* iter 10 (last unrolled loop) */

/*  grEndMfmaIndex:0, lwStartMfmaIndex:59, lwEndMfmaIndex:59  */
/*  numMfmaForLR:2, barrierMfmaIndex:61 */
/*  mfmaIndex:40  */
/* localReadsVacancy: latencyLeft 13 */
s_waitcnt lgkmcnt(10)                              // lgkmcnt=0 vmcnt=-1wait for prior local read local write old=0, new=10 newLW=0 newLR=10
v_mfma_f32_32x32x4bf16 a[0+0:15+0], v[vgprValuA_X10_I0+0+0+0], v[vgprValuB_X10_I0+0+0+0], a[0:15]
/*  mfmaIndex:41  */
/* localReadsVacancy: latencyLeft 13 */
v_mfma_f32_32x32x4bf16 a[16+0:31+0], v[vgprValuA_X10_I0+2+0+0], v[vgprValuB_X10_I0+0+0+0], a[16:31]
/*  mfmaIndex:42  */
/* localReadsVacancy: latencyLeft 13 */
	;; [unrolled: 3-line block ×3, first 2 shown]
v_mfma_f32_32x32x4bf16 a[48+0:63+0], v[vgprValuA_X10_I0+6+0+0], v[vgprValuB_X10_I0+0+0+0], a[48:63]
/* numPrefetchIter=0 */
/* dataAtIterA=4 numReadsIterA=7 skipReadsIterA=2 readsPerIterA=4 */
/* dataAtIterB=4 numReadsIterB=7 skipReadsIterB=2 readsPerIterB=1 */


/* iter 11 (last unrolled loop) */

/*  grEndMfmaIndex:0, lwStartMfmaIndex:59, lwEndMfmaIndex:59  */
/*  numMfmaForLR:2, barrierMfmaIndex:61 */
/*  mfmaIndex:44  */
/* localReadsVacancy: latencyLeft 13 */
s_waitcnt lgkmcnt(10)                              // lgkmcnt=0 vmcnt=-1wait for prior local read local write old=0, new=10 newLW=0 newLR=10
v_mfma_f32_32x32x4bf16 a[0+0:15+0], v[vgprValuA_X10_I0+0+1+0], v[vgprValuB_X10_I0+0+1+0], a[0:15]
/*  mfmaIndex:45  */
/* localReadsVacancy: latencyLeft 13 */
v_mfma_f32_32x32x4bf16 a[16+0:31+0], v[vgprValuA_X10_I0+2+1+0], v[vgprValuB_X10_I0+0+1+0], a[16:31]
/*  mfmaIndex:46  */
/* localReadsVacancy: latencyLeft 13 */
	;; [unrolled: 3-line block ×3, first 2 shown]
v_mfma_f32_32x32x4bf16 a[48+0:63+0], v[vgprValuA_X10_I0+6+1+0], v[vgprValuB_X10_I0+0+1+0], a[48:63]
/* numPrefetchIter=0 */
/* dataAtIterA=4 numReadsIterA=7 skipReadsIterA=2 readsPerIterA=4 */
/* dataAtIterB=4 numReadsIterB=7 skipReadsIterB=2 readsPerIterB=1 */


/* iter 12 (last unrolled loop) */

/*  grEndMfmaIndex:0, lwStartMfmaIndex:59, lwEndMfmaIndex:59  */
/*  numMfmaForLR:2, barrierMfmaIndex:61 */
/*  mfmaIndex:48  */
/* localReadsVacancy: latencyLeft 13 */
s_waitcnt lgkmcnt(5)                               // lgkmcnt=0 vmcnt=-1wait for prior local read local write old=0, new=5 newLW=0 newLR=5
v_mfma_f32_32x32x4bf16 a[0+0:15+0], v[vgprValuA_X12_I0+0+0+0], v[vgprValuB_X12_I0+0+0+0], a[0:15]
/*  mfmaIndex:49  */
/* localReadsVacancy: latencyLeft 13 */
v_mfma_f32_32x32x4bf16 a[16+0:31+0], v[vgprValuA_X12_I0+2+0+0], v[vgprValuB_X12_I0+0+0+0], a[16:31]
/*  mfmaIndex:50  */
/* localReadsVacancy: latencyLeft 13 */
	;; [unrolled: 3-line block ×3, first 2 shown]
v_mfma_f32_32x32x4bf16 a[48+0:63+0], v[vgprValuA_X12_I0+6+0+0], v[vgprValuB_X12_I0+0+0+0], a[48:63]
/* numPrefetchIter=0 */
/* dataAtIterA=5 numReadsIterA=7 skipReadsIterA=1 readsPerIterA=4 */
/* dataAtIterB=5 numReadsIterB=7 skipReadsIterB=1 readsPerIterB=1 */


/* iter 13 (last unrolled loop) */

/*  grEndMfmaIndex:0, lwStartMfmaIndex:59, lwEndMfmaIndex:59  */
/*  numMfmaForLR:2, barrierMfmaIndex:61 */
/*  mfmaIndex:52  */
/* localReadsVacancy: latencyLeft 13 */
s_waitcnt lgkmcnt(5)                               // lgkmcnt=0 vmcnt=-1wait for prior local read local write old=0, new=5 newLW=0 newLR=5
v_mfma_f32_32x32x4bf16 a[0+0:15+0], v[vgprValuA_X12_I0+0+1+0], v[vgprValuB_X12_I0+0+1+0], a[0:15]
/*  mfmaIndex:53  */
/* localReadsVacancy: latencyLeft 13 */
v_mfma_f32_32x32x4bf16 a[16+0:31+0], v[vgprValuA_X12_I0+2+1+0], v[vgprValuB_X12_I0+0+1+0], a[16:31]
/*  mfmaIndex:54  */
/* localReadsVacancy: latencyLeft 13 */
v_mfma_f32_32x32x4bf16 a[32+0:47+0], v[vgprValuA_X12_I0+4+1+0], v[vgprValuB_X12_I0+0+1+0], a[32:47]
/*  mfmaIndex:55  */
/* localReadsVacancy: latencyLeft 13 */
v_mfma_f32_32x32x4bf16 a[48+0:63+0], v[vgprValuA_X12_I0+6+1+0], v[vgprValuB_X12_I0+0+1+0], a[48:63]
/* numPrefetchIter=0 */
/* dataAtIterA=5 numReadsIterA=7 skipReadsIterA=1 readsPerIterA=4 */
/* dataAtIterB=5 numReadsIterB=7 skipReadsIterB=1 readsPerIterB=1 */


/* iter 14 (last unrolled loop) */

/*  grEndMfmaIndex:0, lwStartMfmaIndex:59, lwEndMfmaIndex:59  */
/*  numMfmaForLR:2, barrierMfmaIndex:61 */
/*  mfmaIndex:56  */
/* localReadsVacancy: latencyLeft 13 */
s_waitcnt lgkmcnt(0)                               // lgkmcnt=0 vmcnt=-1wait for prior local read local write old=0, new=0 newLW=0 newLR=0
v_mfma_f32_32x32x4bf16 a[0+0:15+0], v[vgprValuA_X14_I0+0+0+0], v[vgprValuB_X14_I0+0+0+0], a[0:15]
/*  mfmaIndex:57  */
/* localReadsVacancy: latencyLeft 13 */
v_mfma_f32_32x32x4bf16 a[16+0:31+0], v[vgprValuA_X14_I0+2+0+0], v[vgprValuB_X14_I0+0+0+0], a[16:31]
/*  mfmaIndex:58  */
/* localReadsVacancy: latencyLeft 13 */
/* 1 LDS buffer: read-sync-write */
s_waitcnt lgkmcnt(0)                               // 
s_barrier                                          // 
v_mfma_f32_32x32x4bf16 a[32+0:47+0], v[vgprValuA_X14_I0+4+0+0], v[vgprValuB_X14_I0+0+0+0], a[32:47]
/*  mfmaIndex:59  */
/* localReadsVacancy: latencyLeft 13 */
v_mfma_f32_32x32x4bf16 a[48+0:63+0], v[vgprValuA_X14_I0+6+0+0], v[vgprValuB_X14_I0+0+0+0], a[48:63]
/* numPrefetchIter=0 */
/* dataAtIterA=6 numReadsIterA=7 skipReadsIterA=0 readsPerIterA=4 */
/* dataAtIterB=6 numReadsIterB=7 skipReadsIterB=0 readsPerIterB=1 */


/* iter 15 (last unrolled loop) */

/*  grEndMfmaIndex:0, lwStartMfmaIndex:59, lwEndMfmaIndex:59  */
/*  numMfmaForLR:2, barrierMfmaIndex:61 */
/*  mfmaIndex:60  */
v_mfma_f32_32x32x4bf16 a[0+0:15+0], v[vgprValuA_X14_I0+0+1+0], v[vgprValuB_X14_I0+0+1+0], a[0:15]
/*  mfmaIndex:61  */
v_mfma_f32_32x32x4bf16 a[16+0:31+0], v[vgprValuA_X14_I0+2+1+0], v[vgprValuB_X14_I0+0+1+0], a[16:31]
	;; [unrolled: 2-line block ×4, first 2 shown]

PrefetchGlobalLastIterEnd_5:


/******************************************/
/* Tail Loop                              */
/******************************************/


/* local write reset offsets a */


	;; [unrolled: 1-line block ×4, first 2 shown]
/* local write reset offsets b */


	;; [unrolled: 1-line block ×4, first 2 shown]
//numIterL = (((sizeL % LOCAL_DEPTHU) + LOCAL_SPLITU - 1) / LOCAL_SPLITU)
s_and_b32 s[sgprLoopCounterL], 63, s[sgprSizesSum+0] // s[sgprLoopCounterL] = s[sgprSizesSum+0] % 64
s_cmp_eq_u32 s[sgprLoopCounterL], 0x0              // numIterL == 0
s_cbranch_scc1 SkipTailLoopL_8                     // skip to end of tail loop b/c numIter==0
s_mov_b32 s[sgprOrigLoopCounter], 0                // repurpose to count each localRead increment


/* Update M0 for DTLDS */


	;; [unrolled: 1-line block ×3, first 2 shown]
/* global read a */

/* g2l=0, load component 0 */
_buffer_load_d16_b16 v[vgprG2LA+0+0], v[vgprGlobalReadOffsetA+0], s[sgprSrdA:sgprSrdA+3], 0, offen offset:0 // load one buffer value
/* g2l=0, load component 1 */
_buffer_load_d16_hi_b16 v165, v[vgprGlobalReadOffsetA+0], s[sgprSrdA:sgprSrdA+3], 0, offen offset:2 // load one buffer value
s_waitcnt vmcnt(0)
v_or_b32 v[vgprG2LA+0+0], v[vgprG2LA+0+0], v165 // HasEccHalf: pack
/* g2l=1, load component 0 */
_buffer_load_d16_b16 v[vgprG2LA+1+0], v[vgprGlobalReadOffsetA+1], s[sgprSrdA:sgprSrdA+3], 0, offen offset:0 // load one buffer value
/* g2l=1, load component 1 */
_buffer_load_d16_hi_b16 v165, v[vgprGlobalReadOffsetA+1], s[sgprSrdA:sgprSrdA+3], 0, offen offset:2 // load one buffer value
s_waitcnt vmcnt(0)
v_or_b32 v[vgprG2LA+1+0], v[vgprG2LA+1+0], v165 // HasEccHalf: pack
	;; [unrolled: 6-line block ×32, first 2 shown]


/* Update M0 for DTLDS */


	;; [unrolled: 1-line block ×3, first 2 shown]
/* global read b */

/* g2l=0, load component 0 */
_buffer_load_d16_b16 v[vgprG2LB+0+0], v[vgprGlobalReadOffsetB+0], s[sgprSrdB:sgprSrdB+3], 0, offen offset:0 // load one buffer value
/* g2l=0, load component 1 */
_buffer_load_d16_hi_b16 v165, v[vgprGlobalReadOffsetB+0], s[sgprSrdB:sgprSrdB+3], 0, offen offset:2 // load one buffer value
s_waitcnt vmcnt(0)
v_or_b32 v[vgprG2LB+0+0], v[vgprG2LB+0+0], v165 // HasEccHalf: pack
/* g2l=1, load component 0 */
_buffer_load_d16_b16 v[vgprG2LB+1+0], v[vgprGlobalReadOffsetB+1], s[sgprSrdB:sgprSrdB+3], 0, offen offset:0 // load one buffer value
/* g2l=1, load component 1 */
_buffer_load_d16_hi_b16 v165, v[vgprGlobalReadOffsetB+1], s[sgprSrdB:sgprSrdB+3], 0, offen offset:2 // load one buffer value
s_waitcnt vmcnt(0)
v_or_b32 v[vgprG2LB+1+0], v[vgprG2LB+1+0], v165 // HasEccHalf: pack
	;; [unrolled: 6-line block ×8, first 2 shown]

s_waitcnt vmcnt(0)                                 // lgkmcnt=-1 vmcnt=02wait for global read

s_waitcnt lgkmcnt(0) & vmcnt(0)                    // force waitcnt0
s_barrier //


/* Done global A/B reads */


	;; [unrolled: 1-line block ×4, first 2 shown]
/* local write a */

_ds_store_b32 v[vgprLocalWriteAddrA], v[vgprG2LA+0] offset:0 // lwoA_0_0_0_0 = (0*LSCA)*(MT0I+PAD) + (0*LSPA) = 0
_ds_store_b32 v[vgprLocalWriteAddrA], v[vgprG2LA+1] offset:272 // lwoA_0_0_1_0 = (0*LSCA)*(MT0I+PAD) + (1*LSPA) = 272
_ds_store_b32 v[vgprLocalWriteAddrA], v[vgprG2LA+2] offset:544 // lwoA_0_0_2_0 = (0*LSCA)*(MT0I+PAD) + (2*LSPA) = 544
_ds_store_b32 v[vgprLocalWriteAddrA], v[vgprG2LA+3] offset:816 // lwoA_0_0_3_0 = (0*LSCA)*(MT0I+PAD) + (3*LSPA) = 816
_ds_store_b32 v[vgprLocalWriteAddrA], v[vgprG2LA+4] offset:1088 // lwoA_0_0_4_0 = (0*LSCA)*(MT0I+PAD) + (4*LSPA) = 1088
_ds_store_b32 v[vgprLocalWriteAddrA], v[vgprG2LA+5] offset:1360 // lwoA_0_0_5_0 = (0*LSCA)*(MT0I+PAD) + (5*LSPA) = 1360
_ds_store_b32 v[vgprLocalWriteAddrA], v[vgprG2LA+6] offset:1632 // lwoA_0_0_6_0 = (0*LSCA)*(MT0I+PAD) + (6*LSPA) = 1632
_ds_store_b32 v[vgprLocalWriteAddrA], v[vgprG2LA+7] offset:1904 // lwoA_0_0_7_0 = (0*LSCA)*(MT0I+PAD) + (7*LSPA) = 1904
_ds_store_b32 v[vgprLocalWriteAddrA], v[vgprG2LA+8] offset:2176 // lwoA_0_0_8_0 = (0*LSCA)*(MT0I+PAD) + (8*LSPA) = 2176
_ds_store_b32 v[vgprLocalWriteAddrA], v[vgprG2LA+9] offset:2448 // lwoA_0_0_9_0 = (0*LSCA)*(MT0I+PAD) + (9*LSPA) = 2448
_ds_store_b32 v[vgprLocalWriteAddrA], v[vgprG2LA+10] offset:2720 // lwoA_0_0_10_0 = (0*LSCA)*(MT0I+PAD) + (10*LSPA) = 2720
_ds_store_b32 v[vgprLocalWriteAddrA], v[vgprG2LA+11] offset:2992 // lwoA_0_0_11_0 = (0*LSCA)*(MT0I+PAD) + (11*LSPA) = 2992
_ds_store_b32 v[vgprLocalWriteAddrA], v[vgprG2LA+12] offset:3264 // lwoA_0_0_12_0 = (0*LSCA)*(MT0I+PAD) + (12*LSPA) = 3264
_ds_store_b32 v[vgprLocalWriteAddrA], v[vgprG2LA+13] offset:3536 // lwoA_0_0_13_0 = (0*LSCA)*(MT0I+PAD) + (13*LSPA) = 3536
_ds_store_b32 v[vgprLocalWriteAddrA], v[vgprG2LA+14] offset:3808 // lwoA_0_0_14_0 = (0*LSCA)*(MT0I+PAD) + (14*LSPA) = 3808
_ds_store_b32 v[vgprLocalWriteAddrA], v[vgprG2LA+15] offset:4080 // lwoA_0_0_15_0 = (0*LSCA)*(MT0I+PAD) + (15*LSPA) = 4080
_ds_store_b32 v[vgprLocalWriteAddrA], v[vgprG2LA+16] offset:4352 // lwoA_0_0_16_0 = (0*LSCA)*(MT0I+PAD) + (16*LSPA) = 4352
_ds_store_b32 v[vgprLocalWriteAddrA], v[vgprG2LA+17] offset:4624 // lwoA_0_0_17_0 = (0*LSCA)*(MT0I+PAD) + (17*LSPA) = 4624
_ds_store_b32 v[vgprLocalWriteAddrA], v[vgprG2LA+18] offset:4896 // lwoA_0_0_18_0 = (0*LSCA)*(MT0I+PAD) + (18*LSPA) = 4896
_ds_store_b32 v[vgprLocalWriteAddrA], v[vgprG2LA+19] offset:5168 // lwoA_0_0_19_0 = (0*LSCA)*(MT0I+PAD) + (19*LSPA) = 5168
_ds_store_b32 v[vgprLocalWriteAddrA], v[vgprG2LA+20] offset:5440 // lwoA_0_0_20_0 = (0*LSCA)*(MT0I+PAD) + (20*LSPA) = 5440
_ds_store_b32 v[vgprLocalWriteAddrA], v[vgprG2LA+21] offset:5712 // lwoA_0_0_21_0 = (0*LSCA)*(MT0I+PAD) + (21*LSPA) = 5712
_ds_store_b32 v[vgprLocalWriteAddrA], v[vgprG2LA+22] offset:5984 // lwoA_0_0_22_0 = (0*LSCA)*(MT0I+PAD) + (22*LSPA) = 5984
_ds_store_b32 v[vgprLocalWriteAddrA], v[vgprG2LA+23] offset:6256 // lwoA_0_0_23_0 = (0*LSCA)*(MT0I+PAD) + (23*LSPA) = 6256
_ds_store_b32 v[vgprLocalWriteAddrA], v[vgprG2LA+24] offset:6528 // lwoA_0_0_24_0 = (0*LSCA)*(MT0I+PAD) + (24*LSPA) = 6528
_ds_store_b32 v[vgprLocalWriteAddrA], v[vgprG2LA+25] offset:6800 // lwoA_0_0_25_0 = (0*LSCA)*(MT0I+PAD) + (25*LSPA) = 6800
_ds_store_b32 v[vgprLocalWriteAddrA], v[vgprG2LA+26] offset:7072 // lwoA_0_0_26_0 = (0*LSCA)*(MT0I+PAD) + (26*LSPA) = 7072
_ds_store_b32 v[vgprLocalWriteAddrA], v[vgprG2LA+27] offset:7344 // lwoA_0_0_27_0 = (0*LSCA)*(MT0I+PAD) + (27*LSPA) = 7344
_ds_store_b32 v[vgprLocalWriteAddrA], v[vgprG2LA+28] offset:7616 // lwoA_0_0_28_0 = (0*LSCA)*(MT0I+PAD) + (28*LSPA) = 7616
_ds_store_b32 v[vgprLocalWriteAddrA], v[vgprG2LA+29] offset:7888 // lwoA_0_0_29_0 = (0*LSCA)*(MT0I+PAD) + (29*LSPA) = 7888
_ds_store_b32 v[vgprLocalWriteAddrA], v[vgprG2LA+30] offset:8160 // lwoA_0_0_30_0 = (0*LSCA)*(MT0I+PAD) + (30*LSPA) = 8160
_ds_store_b32 v[vgprLocalWriteAddrA], v[vgprG2LA+31] offset:8432 // lwoA_0_0_31_0 = (0*LSCA)*(MT0I+PAD) + (31*LSPA) = 8432


/* local write b */

_ds_store_b32 v[vgprLocalWriteAddrB], v[vgprG2LB+0] offset:0 // lwoB_0_0_0_0 = (0*LSCB)*(MT1J+PAD) + (0*LSPB) = 0
_ds_store_b32 v[vgprLocalWriteAddrB], v[vgprG2LB+1] offset:272 // lwoB_0_0_1_0 = (0*LSCB)*(MT1J+PAD) + (1*LSPB) = 272
_ds_store_b32 v[vgprLocalWriteAddrB], v[vgprG2LB+2] offset:544 // lwoB_0_0_2_0 = (0*LSCB)*(MT1J+PAD) + (2*LSPB) = 544
_ds_store_b32 v[vgprLocalWriteAddrB], v[vgprG2LB+3] offset:816 // lwoB_0_0_3_0 = (0*LSCB)*(MT1J+PAD) + (3*LSPB) = 816
_ds_store_b32 v[vgprLocalWriteAddrB], v[vgprG2LB+4] offset:1088 // lwoB_0_0_4_0 = (0*LSCB)*(MT1J+PAD) + (4*LSPB) = 1088
_ds_store_b32 v[vgprLocalWriteAddrB], v[vgprG2LB+5] offset:1360 // lwoB_0_0_5_0 = (0*LSCB)*(MT1J+PAD) + (5*LSPB) = 1360
_ds_store_b32 v[vgprLocalWriteAddrB], v[vgprG2LB+6] offset:1632 // lwoB_0_0_6_0 = (0*LSCB)*(MT1J+PAD) + (6*LSPB) = 1632
_ds_store_b32 v[vgprLocalWriteAddrB], v[vgprG2LB+7] offset:1904 // lwoB_0_0_7_0 = (0*LSCB)*(MT1J+PAD) + (7*LSPB) = 1904


/* Recalc local read offsets */

/*lr0I*/
v_and_b32 v166, 63, v[vgprSerial]                  // 0. thread id in wave: wtid = tid % wavelength(64)
v_and_b32 v165, 31, v166                           // 1. N offset: nIdx = wtid % MI_N(32)
v_lshlrev_b32 v165, 0x6, v165                      // 1. N offset: nOffset = nIdx * nStride(64)
                                                   // 2. block offset: bnIdx = bnIdx % num1DBlocks(1) is 0. do nothing
                                                   // 4. apply VectorWidth: bnOffset = bnOffset * vw(1) (multiplier is 1, do nothing)
v_lshrrev_b32 v166, 5, v166                        // 5. K offset: kIdx = wtid / (MIN(32) * MIBB(1))
v_lshlrev_b32 v166, 0x1, v166                      // 5. K offset: lrKOffset = kIdx * mStride(2)
_v_add_u32 v165, v166, v165                        // 6. offset in wave: lrOffset = bnOffset + lrKOffset
v_lshrrev_b32 v167, 6, v[vgprSerial]               // 7. wave offset in N dimen: wtid = tid / dividedForWaveId(64)
v_and_b32 v166, 1, v167                            // 7. wave offset in M dimen: wtid0 = wtid / num1DWaves(2)
v_lshlrev_b32 v166, 0xb, v166                      // 7. wave offset in M dimen: wOffset = wtid0 * W0Stride(2048)
_v_add_u32 v165, v166, v165                        // 8. final local read offset: flrOffset = lrOffset + WOffset
/*lr1J*/
v_and_b32 v167, 63, v[vgprSerial]                  // 0. thread id in wave: wtid = tid % wavelength(64)
v_and_b32 v166, 31, v167                           // 1. N offset: nIdx = wtid % MI_N(32)
v_lshlrev_b32 v166, 0x6, v166                      // 1. N offset: nOffset = nIdx * nStride(64)
                                                   // 2. block offset: bnIdx = bnIdx % num1DBlocks(1) is 0. do nothing
                                                   // 4. apply VectorWidth: bnOffset = bnOffset * vw(1) (multiplier is 1, do nothing)
v_lshrrev_b32 v167, 5, v167                        // 5. K offset: kIdx = wtid / (MIN(32) * MIBB(1))
v_lshlrev_b32 v167, 0x1, v167                      // 5. K offset: lrKOffset = kIdx * mStride(2)
_v_add_u32 v166, v167, v166                        // 6. offset in wave: lrOffset = bnOffset + lrKOffset
v_lshrrev_b32 v168, 7, v[vgprSerial]               // 7. wave offset in N dimen: wtid = tid / dividedForWaveId(128)
v_and_b32 v167, 1, v168                            // 7. wave offset in M dimen: wtid0 = wtid / num1DWaves(2)
v_lshlrev_b32 v167, 0xb, v167                      // 7. wave offset in M dimen: wOffset = wtid0 * W0Stride(2048)
_v_add_u32 v166, v167, v166                        // 8. final local read offset: flrOffset = lrOffset + WOffset
v_lshlrev_b32 v[vgprLocalReadAddrA], 0x1, v165     // Final Offset: offset = (lro0)*bpe
v_lshrrev_b32 v165, 7, v[vgprLocalReadAddrA]       // Final Offset: padding 4 per block 128
v_lshlrev_b32 v165, 0x3, v165                      // Final Offset: padding 4 per block 128
_v_add_u32 v[vgprLocalReadAddrA], v165, v[vgprLocalReadAddrA] // Final Offset: add padding 4 per block 128
/* N/A */
v_lshlrev_b32 v[vgprLocalReadAddrB], 0x1, v166     // Final Offset: offset = (lro1)*bpe
v_lshrrev_b32 v165, 7, v[vgprLocalReadAddrB]       // Final Offset: padding 4 per block 128
v_lshlrev_b32 v165, 0x3, v165                      // Final Offset: padding 4 per block 128
_v_add_u32 v[vgprLocalReadAddrB], v165, v[vgprLocalReadAddrB] // Final Offset: add padding 4 per block 128
_v_add_co_u32 v[vgprLocalReadAddrB+0], vcc, 0x8800, v[vgprLocalReadAddrB+0] //  += LdsOffsetB (lower)

s_waitcnt lgkmcnt(0)                               // lgkmcnt=0 vmcnt=-15wait for local write

s_waitcnt lgkmcnt(0) & vmcnt(0)                    // force waitcnt0
s_barrier //


/* local read reset offsets a */


	;; [unrolled: 1-line block ×3, first 2 shown]
/* local read reset offsets b */


	;; [unrolled: 1-line block ×3, first 2 shown]
/* local read init pointers a */


/* localReadInitPointers */


/* local read init pointers b */


/* localReadInitPointers */


/* tail loop: macs */

TailLoopBeginL_6:


/* tail loop unroll iter 0 */


/* local read a */

_ds_load_b32 v[vgprValuA_X0_I0+0], v[vgprLocalReadAddrA] offset:0 // L -> Reg lro=0 swapByteOffset=0 ti=64 vIdx=0 rIdx=0 oIdx=0 buffer=0 iui=0
_ds_load_b32 v[vgprValuA_X0_I0+1], v[vgprLocalReadAddrA] offset:8704 // L -> Reg lro=0 swapByteOffset=0 ti=64 vIdx=1 rIdx=0 oIdx=0 buffer=0 iui=0
	;; [unrolled: 1-line block ×4, first 2 shown]


/* local read b */

_ds_load_b32 v[vgprValuB_X0_I0+0], v[vgprLocalReadAddrB] offset:0 // L -> Reg lro=0 swapByteOffset=0 ti=64 vIdx=0 rIdx=0 oIdx=0 buffer=0 iui=0


/* local read inc a */

s_mov_b32 s33, 0x8                                 // inc
_v_add_co_u32 v[vgprLocalReadAddrA], vcc, s33, v[vgprLocalReadAddrA] // lrA += 8 (LSU*bpe)


/* local read inc b */

s_mov_b32 s33, 0x8                                 // inc
_v_add_co_u32 v[vgprLocalReadAddrB], vcc, s33, v[vgprLocalReadAddrB] // lrB += 8 (LSU*bpe)

s_waitcnt lgkmcnt(0)                               // lgkmcnt=0 vmcnt=-14wait for local read


	;; [unrolled: 1-line block ×3, first 2 shown]
/* tail loop mfma iter 0: numReadsIterCoalescedA=1, numReadsIterCoalescedB=1 */
v_and_b32 v165, 63, v[vgprSerial]                  // v165 = v[vgprSerial] % 64
v_lshrrev_b32 v165, 5, v165                        // v165 = v165 / 32
v_lshlrev_b32 v165, 0x1, v165                      // v165 = v165 * 2
v_cmp_ge_i32 s[34:35], v165, s[sgprLoopCounterL]   // check K index >= Size L
v_cndmask_b32 v[vgprValuA_X0_I0+0+0+0+0], v[vgprValuA_X0_I0+0+0+0+0], 0x0, s[34:35] // set 0 if K_idx >= sizeL
v_cndmask_b32 v[vgprValuA_X0_I0+1+0+0+0], v[vgprValuA_X0_I0+1+0+0+0], 0x0, s[34:35] // set 0 if K_idx >= sizeL
	;; [unrolled: 1-line block ×4, first 2 shown]
v_cndmask_b32 v[vgprValuB_X0_I0+0+0+0+0], v[vgprValuB_X0_I0+0+0+0+0], 0x0, s[34:35] // set 0 if K_idx >= sizeL
_v_sub_u32 v165, s[sgprLoopCounterL], v165         // get distance between size and k index
v_cmp_lt_i32 s[34:35], v165, 2                     // set partial 0 if distance less than input per thread
s_and_b32 s36, s[sgprLoopCounterL], 1              // get inputs for edge thread
s_sub_u32 s36, 2, s36                              // use shift to fill 0 for outside element
s_lshl_b32 s36, s36, 4                             // use shift to fill 0 for outside element
v_mov_b32 v166, -1                                 // set 0xffffffff
v_lshrrev_b32 v166, s36, v166                      // rshift mask for partial k
v_cndmask_b32 v166, -1, v166, s[34:35]             // select shifted mask for partial k
v_and_b32 v[vgprValuA_X0_I0+0+0+0+0], v[vgprValuA_X0_I0+0+0+0+0], v166 // 
v_and_b32 v[vgprValuA_X0_I0+1+0+0+0], v[vgprValuA_X0_I0+1+0+0+0], v166 // 
	;; [unrolled: 1-line block ×4, first 2 shown]
v_and_b32 v[vgprValuB_X0_I0+0+0+0+0], v[vgprValuB_X0_I0+0+0+0+0], v166 // 
s_nop 1
v_mfma_f32_32x32x4bf16 a[0+0:15+0], v[vgprValuA_X0_I0+0+0+0], v[vgprValuB_X0_I0+0+0+0], a[0:15]
v_mfma_f32_32x32x4bf16 a[16+0:31+0], v[vgprValuA_X0_I0+1+0+0], v[vgprValuB_X0_I0+0+0+0], a[16:31]
	;; [unrolled: 1-line block ×4, first 2 shown]


/* closeLoop loopL finalLoop=0 tailLoop=1 */
s_sub_i32 s[sgprLoopCounterL], s[sgprLoopCounterL], 0x4 // dec counterL (tailLoop)
s_add_u32 s[sgprOrigLoopCounter], s[sgprOrigLoopCounter], 0x4 // inc counterL
s_cmp_le_i32 s[sgprLoopCounterL], 0x0              // counterL<=0
s_cbranch_scc1 TailLoopEndL_7                      // exit LoopL


/* tail loop unroll iter 1 */


/* local read a */

_ds_load_b32 v[vgprValuA_X1_I0+0], v[vgprLocalReadAddrA] offset:0 // L -> Reg lro=0 swapByteOffset=0 ti=64 vIdx=0 rIdx=0 oIdx=0 buffer=1 iui=0
_ds_load_b32 v[vgprValuA_X1_I0+1], v[vgprLocalReadAddrA] offset:8704 // L -> Reg lro=0 swapByteOffset=0 ti=64 vIdx=1 rIdx=0 oIdx=0 buffer=1 iui=0
	;; [unrolled: 1-line block ×4, first 2 shown]


/* local read b */

_ds_load_b32 v[vgprValuB_X1_I0+0], v[vgprLocalReadAddrB] offset:0 // L -> Reg lro=0 swapByteOffset=0 ti=64 vIdx=0 rIdx=0 oIdx=0 buffer=1 iui=0


/* local read inc a */

s_mov_b32 s33, 0x8                                 // inc
_v_add_co_u32 v[vgprLocalReadAddrA], vcc, s33, v[vgprLocalReadAddrA] // lrA += 8 (LSU*bpe)


/* local read inc b */

s_mov_b32 s33, 0x8                                 // inc
_v_add_co_u32 v[vgprLocalReadAddrB], vcc, s33, v[vgprLocalReadAddrB] // lrB += 8 (LSU*bpe)

s_waitcnt lgkmcnt(0)                               // lgkmcnt=0 vmcnt=-14wait for local read


	;; [unrolled: 1-line block ×3, first 2 shown]
/* tail loop mfma iter 1: numReadsIterCoalescedA=1, numReadsIterCoalescedB=1 */
v_and_b32 v165, 63, v[vgprSerial]                  // v165 = v[vgprSerial] % 64
v_lshrrev_b32 v165, 5, v165                        // v165 = v165 / 32
v_lshlrev_b32 v165, 0x1, v165                      // v165 = v165 * 2
v_cmp_ge_i32 s[34:35], v165, s[sgprLoopCounterL]   // check K index >= Size L
v_cndmask_b32 v[vgprValuA_X1_I0+0+0+0+0], v[vgprValuA_X1_I0+0+0+0+0], 0x0, s[34:35] // set 0 if K_idx >= sizeL
v_cndmask_b32 v[vgprValuA_X1_I0+1+0+0+0], v[vgprValuA_X1_I0+1+0+0+0], 0x0, s[34:35] // set 0 if K_idx >= sizeL
v_cndmask_b32 v[vgprValuA_X1_I0+2+0+0+0], v[vgprValuA_X1_I0+2+0+0+0], 0x0, s[34:35] // set 0 if K_idx >= sizeL
v_cndmask_b32 v[vgprValuA_X1_I0+3+0+0+0], v[vgprValuA_X1_I0+3+0+0+0], 0x0, s[34:35] // set 0 if K_idx >= sizeL
v_cndmask_b32 v[vgprValuB_X1_I0+0+0+0+0], v[vgprValuB_X1_I0+0+0+0+0], 0x0, s[34:35] // set 0 if K_idx >= sizeL
_v_sub_u32 v165, s[sgprLoopCounterL], v165         // get distance between size and k index
v_cmp_lt_i32 s[34:35], v165, 2                     // set partial 0 if distance less than input per thread
s_and_b32 s36, s[sgprLoopCounterL], 1              // get inputs for edge thread
s_sub_u32 s36, 2, s36                              // use shift to fill 0 for outside element
s_lshl_b32 s36, s36, 4                             // use shift to fill 0 for outside element
v_mov_b32 v166, -1                                 // set 0xffffffff
v_lshrrev_b32 v166, s36, v166                      // rshift mask for partial k
v_cndmask_b32 v166, -1, v166, s[34:35]             // select shifted mask for partial k
v_and_b32 v[vgprValuA_X1_I0+0+0+0+0], v[vgprValuA_X1_I0+0+0+0+0], v166 // 
v_and_b32 v[vgprValuA_X1_I0+1+0+0+0], v[vgprValuA_X1_I0+1+0+0+0], v166 // 
	;; [unrolled: 1-line block ×4, first 2 shown]
v_and_b32 v[vgprValuB_X1_I0+0+0+0+0], v[vgprValuB_X1_I0+0+0+0+0], v166 // 
s_nop 1
v_mfma_f32_32x32x4bf16 a[0+0:15+0], v[vgprValuA_X1_I0+0+0+0], v[vgprValuB_X1_I0+0+0+0], a[0:15]
v_mfma_f32_32x32x4bf16 a[16+0:31+0], v[vgprValuA_X1_I0+1+0+0], v[vgprValuB_X1_I0+0+0+0], a[16:31]
	;; [unrolled: 1-line block ×4, first 2 shown]


/* closeLoop loopL finalLoop=0 tailLoop=1 */
s_sub_i32 s[sgprLoopCounterL], s[sgprLoopCounterL], 0x4 // dec counterL (tailLoop)
s_add_u32 s[sgprOrigLoopCounter], s[sgprOrigLoopCounter], 0x4 // inc counterL
s_cmp_le_i32 s[sgprLoopCounterL], 0x0              // counterL<=0
s_cbranch_scc1 TailLoopEndL_7                      // exit LoopL


/* tail loop unroll iter 2 */


/* local read a */

_ds_load_b32 v[vgprValuA_X2_I0+0], v[vgprLocalReadAddrA] offset:0 // L -> Reg lro=0 swapByteOffset=0 ti=64 vIdx=0 rIdx=0 oIdx=0 buffer=2 iui=0
_ds_load_b32 v[vgprValuA_X2_I0+1], v[vgprLocalReadAddrA] offset:8704 // L -> Reg lro=0 swapByteOffset=0 ti=64 vIdx=1 rIdx=0 oIdx=0 buffer=2 iui=0
	;; [unrolled: 1-line block ×4, first 2 shown]


/* local read b */

_ds_load_b32 v[vgprValuB_X2_I0+0], v[vgprLocalReadAddrB] offset:0 // L -> Reg lro=0 swapByteOffset=0 ti=64 vIdx=0 rIdx=0 oIdx=0 buffer=2 iui=0


/* local read inc a */

s_mov_b32 s33, 0x8                                 // inc
_v_add_co_u32 v[vgprLocalReadAddrA], vcc, s33, v[vgprLocalReadAddrA] // lrA += 8 (LSU*bpe)


/* local read inc b */

s_mov_b32 s33, 0x8                                 // inc
_v_add_co_u32 v[vgprLocalReadAddrB], vcc, s33, v[vgprLocalReadAddrB] // lrB += 8 (LSU*bpe)

s_waitcnt lgkmcnt(0)                               // lgkmcnt=0 vmcnt=-14wait for local read


	;; [unrolled: 1-line block ×3, first 2 shown]
/* tail loop mfma iter 2: numReadsIterCoalescedA=1, numReadsIterCoalescedB=1 */
v_and_b32 v165, 63, v[vgprSerial]                  // v165 = v[vgprSerial] % 64
v_lshrrev_b32 v165, 5, v165                        // v165 = v165 / 32
v_lshlrev_b32 v165, 0x1, v165                      // v165 = v165 * 2
v_cmp_ge_i32 s[34:35], v165, s[sgprLoopCounterL]   // check K index >= Size L
v_cndmask_b32 v[vgprValuA_X2_I0+0+0+0+0], v[vgprValuA_X2_I0+0+0+0+0], 0x0, s[34:35] // set 0 if K_idx >= sizeL
v_cndmask_b32 v[vgprValuA_X2_I0+1+0+0+0], v[vgprValuA_X2_I0+1+0+0+0], 0x0, s[34:35] // set 0 if K_idx >= sizeL
v_cndmask_b32 v[vgprValuA_X2_I0+2+0+0+0], v[vgprValuA_X2_I0+2+0+0+0], 0x0, s[34:35] // set 0 if K_idx >= sizeL
v_cndmask_b32 v[vgprValuA_X2_I0+3+0+0+0], v[vgprValuA_X2_I0+3+0+0+0], 0x0, s[34:35] // set 0 if K_idx >= sizeL
v_cndmask_b32 v[vgprValuB_X2_I0+0+0+0+0], v[vgprValuB_X2_I0+0+0+0+0], 0x0, s[34:35] // set 0 if K_idx >= sizeL
_v_sub_u32 v165, s[sgprLoopCounterL], v165         // get distance between size and k index
v_cmp_lt_i32 s[34:35], v165, 2                     // set partial 0 if distance less than input per thread
s_and_b32 s36, s[sgprLoopCounterL], 1              // get inputs for edge thread
s_sub_u32 s36, 2, s36                              // use shift to fill 0 for outside element
s_lshl_b32 s36, s36, 4                             // use shift to fill 0 for outside element
v_mov_b32 v166, -1                                 // set 0xffffffff
v_lshrrev_b32 v166, s36, v166                      // rshift mask for partial k
v_cndmask_b32 v166, -1, v166, s[34:35]             // select shifted mask for partial k
v_and_b32 v[vgprValuA_X2_I0+0+0+0+0], v[vgprValuA_X2_I0+0+0+0+0], v166 // 
v_and_b32 v[vgprValuA_X2_I0+1+0+0+0], v[vgprValuA_X2_I0+1+0+0+0], v166 // 
	;; [unrolled: 1-line block ×4, first 2 shown]
v_and_b32 v[vgprValuB_X2_I0+0+0+0+0], v[vgprValuB_X2_I0+0+0+0+0], v166 // 
s_nop 1
v_mfma_f32_32x32x4bf16 a[0+0:15+0], v[vgprValuA_X2_I0+0+0+0], v[vgprValuB_X2_I0+0+0+0], a[0:15]
v_mfma_f32_32x32x4bf16 a[16+0:31+0], v[vgprValuA_X2_I0+1+0+0], v[vgprValuB_X2_I0+0+0+0], a[16:31]
	;; [unrolled: 1-line block ×4, first 2 shown]


/* closeLoop loopL finalLoop=0 tailLoop=1 */
s_sub_i32 s[sgprLoopCounterL], s[sgprLoopCounterL], 0x4 // dec counterL (tailLoop)
s_add_u32 s[sgprOrigLoopCounter], s[sgprOrigLoopCounter], 0x4 // inc counterL
s_cmp_le_i32 s[sgprLoopCounterL], 0x0              // counterL<=0
s_cbranch_scc1 TailLoopEndL_7                      // exit LoopL


/* tail loop unroll iter 3 */


/* local read a */

_ds_load_b32 v[vgprValuA_X3_I0+0], v[vgprLocalReadAddrA] offset:0 // L -> Reg lro=0 swapByteOffset=0 ti=64 vIdx=0 rIdx=0 oIdx=0 buffer=3 iui=0
_ds_load_b32 v[vgprValuA_X3_I0+1], v[vgprLocalReadAddrA] offset:8704 // L -> Reg lro=0 swapByteOffset=0 ti=64 vIdx=1 rIdx=0 oIdx=0 buffer=3 iui=0
	;; [unrolled: 1-line block ×4, first 2 shown]


/* local read b */

_ds_load_b32 v[vgprValuB_X3_I0+0], v[vgprLocalReadAddrB] offset:0 // L -> Reg lro=0 swapByteOffset=0 ti=64 vIdx=0 rIdx=0 oIdx=0 buffer=3 iui=0


/* local read inc a */

s_mov_b32 s33, 0x8                                 // inc
_v_add_co_u32 v[vgprLocalReadAddrA], vcc, s33, v[vgprLocalReadAddrA] // lrA += 8 (LSU*bpe)


/* local read inc b */

s_mov_b32 s33, 0x8                                 // inc
_v_add_co_u32 v[vgprLocalReadAddrB], vcc, s33, v[vgprLocalReadAddrB] // lrB += 8 (LSU*bpe)

s_waitcnt lgkmcnt(0)                               // lgkmcnt=0 vmcnt=-14wait for local read


	;; [unrolled: 1-line block ×3, first 2 shown]
/* tail loop mfma iter 3: numReadsIterCoalescedA=1, numReadsIterCoalescedB=1 */
v_and_b32 v165, 63, v[vgprSerial]                  // v165 = v[vgprSerial] % 64
v_lshrrev_b32 v165, 5, v165                        // v165 = v165 / 32
v_lshlrev_b32 v165, 0x1, v165                      // v165 = v165 * 2
v_cmp_ge_i32 s[34:35], v165, s[sgprLoopCounterL]   // check K index >= Size L
v_cndmask_b32 v[vgprValuA_X3_I0+0+0+0+0], v[vgprValuA_X3_I0+0+0+0+0], 0x0, s[34:35] // set 0 if K_idx >= sizeL
v_cndmask_b32 v[vgprValuA_X3_I0+1+0+0+0], v[vgprValuA_X3_I0+1+0+0+0], 0x0, s[34:35] // set 0 if K_idx >= sizeL
	;; [unrolled: 1-line block ×4, first 2 shown]
v_cndmask_b32 v[vgprValuB_X3_I0+0+0+0+0], v[vgprValuB_X3_I0+0+0+0+0], 0x0, s[34:35] // set 0 if K_idx >= sizeL
_v_sub_u32 v165, s[sgprLoopCounterL], v165         // get distance between size and k index
v_cmp_lt_i32 s[34:35], v165, 2                     // set partial 0 if distance less than input per thread
s_and_b32 s36, s[sgprLoopCounterL], 1              // get inputs for edge thread
s_sub_u32 s36, 2, s36                              // use shift to fill 0 for outside element
s_lshl_b32 s36, s36, 4                             // use shift to fill 0 for outside element
v_mov_b32 v166, -1                                 // set 0xffffffff
v_lshrrev_b32 v166, s36, v166                      // rshift mask for partial k
v_cndmask_b32 v166, -1, v166, s[34:35]             // select shifted mask for partial k
v_and_b32 v[vgprValuA_X3_I0+0+0+0+0], v[vgprValuA_X3_I0+0+0+0+0], v166 // 
v_and_b32 v[vgprValuA_X3_I0+1+0+0+0], v[vgprValuA_X3_I0+1+0+0+0], v166 // 
	;; [unrolled: 1-line block ×4, first 2 shown]
v_and_b32 v[vgprValuB_X3_I0+0+0+0+0], v[vgprValuB_X3_I0+0+0+0+0], v166 // 
s_nop 1
v_mfma_f32_32x32x4bf16 a[0+0:15+0], v[vgprValuA_X3_I0+0+0+0], v[vgprValuB_X3_I0+0+0+0], a[0:15]
v_mfma_f32_32x32x4bf16 a[16+0:31+0], v[vgprValuA_X3_I0+1+0+0], v[vgprValuB_X3_I0+0+0+0], a[16:31]
	;; [unrolled: 1-line block ×4, first 2 shown]


/* closeLoop loopL finalLoop=0 tailLoop=1 */
s_sub_i32 s[sgprLoopCounterL], s[sgprLoopCounterL], 0x4 // dec counterL (tailLoop)
s_add_u32 s[sgprOrigLoopCounter], s[sgprOrigLoopCounter], 0x4 // inc counterL
s_cmp_le_i32 s[sgprLoopCounterL], 0x0              // counterL<=0
s_cbranch_scc1 TailLoopEndL_7                      // exit LoopL


/* tail loop unroll iter 4 */


/* local read a */

_ds_load_b32 v[vgprValuA_X4_I0+0], v[vgprLocalReadAddrA] offset:0 // L -> Reg lro=0 swapByteOffset=0 ti=64 vIdx=0 rIdx=0 oIdx=0 buffer=4 iui=0
_ds_load_b32 v[vgprValuA_X4_I0+1], v[vgprLocalReadAddrA] offset:8704 // L -> Reg lro=0 swapByteOffset=0 ti=64 vIdx=1 rIdx=0 oIdx=0 buffer=4 iui=0
	;; [unrolled: 1-line block ×4, first 2 shown]


/* local read b */

_ds_load_b32 v[vgprValuB_X4_I0+0], v[vgprLocalReadAddrB] offset:0 // L -> Reg lro=0 swapByteOffset=0 ti=64 vIdx=0 rIdx=0 oIdx=0 buffer=4 iui=0


/* local read inc a */

s_mov_b32 s33, 0x8                                 // inc
_v_add_co_u32 v[vgprLocalReadAddrA], vcc, s33, v[vgprLocalReadAddrA] // lrA += 8 (LSU*bpe)


/* local read inc b */

s_mov_b32 s33, 0x8                                 // inc
_v_add_co_u32 v[vgprLocalReadAddrB], vcc, s33, v[vgprLocalReadAddrB] // lrB += 8 (LSU*bpe)

s_waitcnt lgkmcnt(0)                               // lgkmcnt=0 vmcnt=-14wait for local read


	;; [unrolled: 1-line block ×3, first 2 shown]
/* tail loop mfma iter 4: numReadsIterCoalescedA=1, numReadsIterCoalescedB=1 */
v_and_b32 v165, 63, v[vgprSerial]                  // v165 = v[vgprSerial] % 64
v_lshrrev_b32 v165, 5, v165                        // v165 = v165 / 32
v_lshlrev_b32 v165, 0x1, v165                      // v165 = v165 * 2
v_cmp_ge_i32 s[34:35], v165, s[sgprLoopCounterL]   // check K index >= Size L
v_cndmask_b32 v[vgprValuA_X4_I0+0+0+0+0], v[vgprValuA_X4_I0+0+0+0+0], 0x0, s[34:35] // set 0 if K_idx >= sizeL
v_cndmask_b32 v[vgprValuA_X4_I0+1+0+0+0], v[vgprValuA_X4_I0+1+0+0+0], 0x0, s[34:35] // set 0 if K_idx >= sizeL
	;; [unrolled: 1-line block ×4, first 2 shown]
v_cndmask_b32 v[vgprValuB_X4_I0+0+0+0+0], v[vgprValuB_X4_I0+0+0+0+0], 0x0, s[34:35] // set 0 if K_idx >= sizeL
_v_sub_u32 v165, s[sgprLoopCounterL], v165         // get distance between size and k index
v_cmp_lt_i32 s[34:35], v165, 2                     // set partial 0 if distance less than input per thread
s_and_b32 s36, s[sgprLoopCounterL], 1              // get inputs for edge thread
s_sub_u32 s36, 2, s36                              // use shift to fill 0 for outside element
s_lshl_b32 s36, s36, 4                             // use shift to fill 0 for outside element
v_mov_b32 v166, -1                                 // set 0xffffffff
v_lshrrev_b32 v166, s36, v166                      // rshift mask for partial k
v_cndmask_b32 v166, -1, v166, s[34:35]             // select shifted mask for partial k
v_and_b32 v[vgprValuA_X4_I0+0+0+0+0], v[vgprValuA_X4_I0+0+0+0+0], v166 // 
v_and_b32 v[vgprValuA_X4_I0+1+0+0+0], v[vgprValuA_X4_I0+1+0+0+0], v166 // 
v_and_b32 v[vgprValuA_X4_I0+2+0+0+0], v[vgprValuA_X4_I0+2+0+0+0], v166 // 
v_and_b32 v[vgprValuA_X4_I0+3+0+0+0], v[vgprValuA_X4_I0+3+0+0+0], v166 // 
v_and_b32 v[vgprValuB_X4_I0+0+0+0+0], v[vgprValuB_X4_I0+0+0+0+0], v166 // 
s_nop 1
v_mfma_f32_32x32x4bf16 a[0+0:15+0], v[vgprValuA_X4_I0+0+0+0], v[vgprValuB_X4_I0+0+0+0], a[0:15]
v_mfma_f32_32x32x4bf16 a[16+0:31+0], v[vgprValuA_X4_I0+1+0+0], v[vgprValuB_X4_I0+0+0+0], a[16:31]
	;; [unrolled: 1-line block ×4, first 2 shown]


/* closeLoop loopL finalLoop=0 tailLoop=1 */
s_sub_i32 s[sgprLoopCounterL], s[sgprLoopCounterL], 0x4 // dec counterL (tailLoop)
s_add_u32 s[sgprOrigLoopCounter], s[sgprOrigLoopCounter], 0x4 // inc counterL
s_cmp_le_i32 s[sgprLoopCounterL], 0x0              // counterL<=0
s_cbranch_scc1 TailLoopEndL_7                      // exit LoopL


/* tail loop unroll iter 5 */


/* local read a */

_ds_load_b32 v[vgprValuA_X5_I0+0], v[vgprLocalReadAddrA] offset:0 // L -> Reg lro=0 swapByteOffset=0 ti=64 vIdx=0 rIdx=0 oIdx=0 buffer=5 iui=0
_ds_load_b32 v[vgprValuA_X5_I0+1], v[vgprLocalReadAddrA] offset:8704 // L -> Reg lro=0 swapByteOffset=0 ti=64 vIdx=1 rIdx=0 oIdx=0 buffer=5 iui=0
_ds_load_b32 v[vgprValuA_X5_I0+2], v[vgprLocalReadAddrA] offset:17408 // L -> Reg lro=0 swapByteOffset=0 ti=64 vIdx=2 rIdx=0 oIdx=0 buffer=5 iui=0
_ds_load_b32 v[vgprValuA_X5_I0+3], v[vgprLocalReadAddrA] offset:26112 // L -> Reg lro=0 swapByteOffset=0 ti=64 vIdx=3 rIdx=0 oIdx=0 buffer=5 iui=0


/* local read b */

_ds_load_b32 v[vgprValuB_X5_I0+0], v[vgprLocalReadAddrB] offset:0 // L -> Reg lro=0 swapByteOffset=0 ti=64 vIdx=0 rIdx=0 oIdx=0 buffer=5 iui=0


/* local read inc a */

s_mov_b32 s33, 0x8                                 // inc
_v_add_co_u32 v[vgprLocalReadAddrA], vcc, s33, v[vgprLocalReadAddrA] // lrA += 8 (LSU*bpe)


/* local read inc b */

s_mov_b32 s33, 0x8                                 // inc
_v_add_co_u32 v[vgprLocalReadAddrB], vcc, s33, v[vgprLocalReadAddrB] // lrB += 8 (LSU*bpe)

s_waitcnt lgkmcnt(0)                               // lgkmcnt=0 vmcnt=-14wait for local read


	;; [unrolled: 1-line block ×3, first 2 shown]
/* tail loop mfma iter 5: numReadsIterCoalescedA=1, numReadsIterCoalescedB=1 */
v_and_b32 v165, 63, v[vgprSerial]                  // v165 = v[vgprSerial] % 64
v_lshrrev_b32 v165, 5, v165                        // v165 = v165 / 32
v_lshlrev_b32 v165, 0x1, v165                      // v165 = v165 * 2
v_cmp_ge_i32 s[34:35], v165, s[sgprLoopCounterL]   // check K index >= Size L
v_cndmask_b32 v[vgprValuA_X5_I0+0+0+0+0], v[vgprValuA_X5_I0+0+0+0+0], 0x0, s[34:35] // set 0 if K_idx >= sizeL
v_cndmask_b32 v[vgprValuA_X5_I0+1+0+0+0], v[vgprValuA_X5_I0+1+0+0+0], 0x0, s[34:35] // set 0 if K_idx >= sizeL
	;; [unrolled: 1-line block ×4, first 2 shown]
v_cndmask_b32 v[vgprValuB_X5_I0+0+0+0+0], v[vgprValuB_X5_I0+0+0+0+0], 0x0, s[34:35] // set 0 if K_idx >= sizeL
_v_sub_u32 v165, s[sgprLoopCounterL], v165         // get distance between size and k index
v_cmp_lt_i32 s[34:35], v165, 2                     // set partial 0 if distance less than input per thread
s_and_b32 s36, s[sgprLoopCounterL], 1              // get inputs for edge thread
s_sub_u32 s36, 2, s36                              // use shift to fill 0 for outside element
s_lshl_b32 s36, s36, 4                             // use shift to fill 0 for outside element
v_mov_b32 v166, -1                                 // set 0xffffffff
v_lshrrev_b32 v166, s36, v166                      // rshift mask for partial k
v_cndmask_b32 v166, -1, v166, s[34:35]             // select shifted mask for partial k
v_and_b32 v[vgprValuA_X5_I0+0+0+0+0], v[vgprValuA_X5_I0+0+0+0+0], v166 // 
v_and_b32 v[vgprValuA_X5_I0+1+0+0+0], v[vgprValuA_X5_I0+1+0+0+0], v166 // 
	;; [unrolled: 1-line block ×4, first 2 shown]
v_and_b32 v[vgprValuB_X5_I0+0+0+0+0], v[vgprValuB_X5_I0+0+0+0+0], v166 // 
s_nop 1
v_mfma_f32_32x32x4bf16 a[0+0:15+0], v[vgprValuA_X5_I0+0+0+0], v[vgprValuB_X5_I0+0+0+0], a[0:15]
v_mfma_f32_32x32x4bf16 a[16+0:31+0], v[vgprValuA_X5_I0+1+0+0], v[vgprValuB_X5_I0+0+0+0], a[16:31]
	;; [unrolled: 1-line block ×4, first 2 shown]


/* closeLoop loopL finalLoop=0 tailLoop=1 */
s_sub_i32 s[sgprLoopCounterL], s[sgprLoopCounterL], 0x4 // dec counterL (tailLoop)
s_add_u32 s[sgprOrigLoopCounter], s[sgprOrigLoopCounter], 0x4 // inc counterL
s_cmp_le_i32 s[sgprLoopCounterL], 0x0              // counterL<=0
s_cbranch_scc1 TailLoopEndL_7                      // exit LoopL


/* tail loop unroll iter 6 */


/* local read a */

_ds_load_b32 v[vgprValuA_X6_I0+0], v[vgprLocalReadAddrA] offset:0 // L -> Reg lro=0 swapByteOffset=0 ti=64 vIdx=0 rIdx=0 oIdx=0 buffer=6 iui=0
_ds_load_b32 v[vgprValuA_X6_I0+1], v[vgprLocalReadAddrA] offset:8704 // L -> Reg lro=0 swapByteOffset=0 ti=64 vIdx=1 rIdx=0 oIdx=0 buffer=6 iui=0
	;; [unrolled: 1-line block ×4, first 2 shown]


/* local read b */

_ds_load_b32 v[vgprValuB_X6_I0+0], v[vgprLocalReadAddrB] offset:0 // L -> Reg lro=0 swapByteOffset=0 ti=64 vIdx=0 rIdx=0 oIdx=0 buffer=6 iui=0


/* local read inc a */

s_mov_b32 s33, 0x8                                 // inc
_v_add_co_u32 v[vgprLocalReadAddrA], vcc, s33, v[vgprLocalReadAddrA] // lrA += 8 (LSU*bpe)


/* local read inc b */

s_mov_b32 s33, 0x8                                 // inc
_v_add_co_u32 v[vgprLocalReadAddrB], vcc, s33, v[vgprLocalReadAddrB] // lrB += 8 (LSU*bpe)

s_waitcnt lgkmcnt(0)                               // lgkmcnt=0 vmcnt=-14wait for local read


	;; [unrolled: 1-line block ×3, first 2 shown]
/* tail loop mfma iter 6: numReadsIterCoalescedA=1, numReadsIterCoalescedB=1 */
v_and_b32 v165, 63, v[vgprSerial]                  // v165 = v[vgprSerial] % 64
v_lshrrev_b32 v165, 5, v165                        // v165 = v165 / 32
v_lshlrev_b32 v165, 0x1, v165                      // v165 = v165 * 2
v_cmp_ge_i32 s[34:35], v165, s[sgprLoopCounterL]   // check K index >= Size L
v_cndmask_b32 v[vgprValuA_X6_I0+0+0+0+0], v[vgprValuA_X6_I0+0+0+0+0], 0x0, s[34:35] // set 0 if K_idx >= sizeL
v_cndmask_b32 v[vgprValuA_X6_I0+1+0+0+0], v[vgprValuA_X6_I0+1+0+0+0], 0x0, s[34:35] // set 0 if K_idx >= sizeL
	;; [unrolled: 1-line block ×4, first 2 shown]
v_cndmask_b32 v[vgprValuB_X6_I0+0+0+0+0], v[vgprValuB_X6_I0+0+0+0+0], 0x0, s[34:35] // set 0 if K_idx >= sizeL
_v_sub_u32 v165, s[sgprLoopCounterL], v165         // get distance between size and k index
v_cmp_lt_i32 s[34:35], v165, 2                     // set partial 0 if distance less than input per thread
s_and_b32 s36, s[sgprLoopCounterL], 1              // get inputs for edge thread
s_sub_u32 s36, 2, s36                              // use shift to fill 0 for outside element
s_lshl_b32 s36, s36, 4                             // use shift to fill 0 for outside element
v_mov_b32 v166, -1                                 // set 0xffffffff
v_lshrrev_b32 v166, s36, v166                      // rshift mask for partial k
v_cndmask_b32 v166, -1, v166, s[34:35]             // select shifted mask for partial k
v_and_b32 v[vgprValuA_X6_I0+0+0+0+0], v[vgprValuA_X6_I0+0+0+0+0], v166 // 
v_and_b32 v[vgprValuA_X6_I0+1+0+0+0], v[vgprValuA_X6_I0+1+0+0+0], v166 // 
v_and_b32 v[vgprValuA_X6_I0+2+0+0+0], v[vgprValuA_X6_I0+2+0+0+0], v166 // 
v_and_b32 v[vgprValuA_X6_I0+3+0+0+0], v[vgprValuA_X6_I0+3+0+0+0], v166 // 
v_and_b32 v[vgprValuB_X6_I0+0+0+0+0], v[vgprValuB_X6_I0+0+0+0+0], v166 // 
s_nop 1
v_mfma_f32_32x32x4bf16 a[0+0:15+0], v[vgprValuA_X6_I0+0+0+0], v[vgprValuB_X6_I0+0+0+0], a[0:15]
v_mfma_f32_32x32x4bf16 a[16+0:31+0], v[vgprValuA_X6_I0+1+0+0], v[vgprValuB_X6_I0+0+0+0], a[16:31]
	;; [unrolled: 1-line block ×4, first 2 shown]


/* closeLoop loopL finalLoop=0 tailLoop=1 */
s_sub_i32 s[sgprLoopCounterL], s[sgprLoopCounterL], 0x4 // dec counterL (tailLoop)
s_add_u32 s[sgprOrigLoopCounter], s[sgprOrigLoopCounter], 0x4 // inc counterL
s_cmp_le_i32 s[sgprLoopCounterL], 0x0              // counterL<=0
s_cbranch_scc1 TailLoopEndL_7                      // exit LoopL


/* tail loop unroll iter 7 */


/* local read a */

_ds_load_b32 v[vgprValuA_X7_I0+0], v[vgprLocalReadAddrA] offset:0 // L -> Reg lro=0 swapByteOffset=0 ti=64 vIdx=0 rIdx=0 oIdx=0 buffer=7 iui=0
_ds_load_b32 v[vgprValuA_X7_I0+1], v[vgprLocalReadAddrA] offset:8704 // L -> Reg lro=0 swapByteOffset=0 ti=64 vIdx=1 rIdx=0 oIdx=0 buffer=7 iui=0
	;; [unrolled: 1-line block ×4, first 2 shown]


/* local read b */

_ds_load_b32 v[vgprValuB_X7_I0+0], v[vgprLocalReadAddrB] offset:0 // L -> Reg lro=0 swapByteOffset=0 ti=64 vIdx=0 rIdx=0 oIdx=0 buffer=7 iui=0


/* local read inc a */

s_mov_b32 s33, 0x8                                 // inc
_v_add_co_u32 v[vgprLocalReadAddrA], vcc, s33, v[vgprLocalReadAddrA] // lrA += 8 (LSU*bpe)


/* local read inc b */

s_mov_b32 s33, 0x8                                 // inc
_v_add_co_u32 v[vgprLocalReadAddrB], vcc, s33, v[vgprLocalReadAddrB] // lrB += 8 (LSU*bpe)

s_waitcnt lgkmcnt(0)                               // lgkmcnt=0 vmcnt=-14wait for local read


	;; [unrolled: 1-line block ×3, first 2 shown]
/* tail loop mfma iter 7: numReadsIterCoalescedA=1, numReadsIterCoalescedB=1 */
v_and_b32 v165, 63, v[vgprSerial]                  // v165 = v[vgprSerial] % 64
v_lshrrev_b32 v165, 5, v165                        // v165 = v165 / 32
v_lshlrev_b32 v165, 0x1, v165                      // v165 = v165 * 2
v_cmp_ge_i32 s[34:35], v165, s[sgprLoopCounterL]   // check K index >= Size L
v_cndmask_b32 v[vgprValuA_X7_I0+0+0+0+0], v[vgprValuA_X7_I0+0+0+0+0], 0x0, s[34:35] // set 0 if K_idx >= sizeL
v_cndmask_b32 v[vgprValuA_X7_I0+1+0+0+0], v[vgprValuA_X7_I0+1+0+0+0], 0x0, s[34:35] // set 0 if K_idx >= sizeL
	;; [unrolled: 1-line block ×4, first 2 shown]
v_cndmask_b32 v[vgprValuB_X7_I0+0+0+0+0], v[vgprValuB_X7_I0+0+0+0+0], 0x0, s[34:35] // set 0 if K_idx >= sizeL
_v_sub_u32 v165, s[sgprLoopCounterL], v165         // get distance between size and k index
v_cmp_lt_i32 s[34:35], v165, 2                     // set partial 0 if distance less than input per thread
s_and_b32 s36, s[sgprLoopCounterL], 1              // get inputs for edge thread
s_sub_u32 s36, 2, s36                              // use shift to fill 0 for outside element
s_lshl_b32 s36, s36, 4                             // use shift to fill 0 for outside element
v_mov_b32 v166, -1                                 // set 0xffffffff
v_lshrrev_b32 v166, s36, v166                      // rshift mask for partial k
v_cndmask_b32 v166, -1, v166, s[34:35]             // select shifted mask for partial k
v_and_b32 v[vgprValuA_X7_I0+0+0+0+0], v[vgprValuA_X7_I0+0+0+0+0], v166 // 
v_and_b32 v[vgprValuA_X7_I0+1+0+0+0], v[vgprValuA_X7_I0+1+0+0+0], v166 // 
	;; [unrolled: 1-line block ×4, first 2 shown]
v_and_b32 v[vgprValuB_X7_I0+0+0+0+0], v[vgprValuB_X7_I0+0+0+0+0], v166 // 
s_nop 1
v_mfma_f32_32x32x4bf16 a[0+0:15+0], v[vgprValuA_X7_I0+0+0+0], v[vgprValuB_X7_I0+0+0+0], a[0:15]
v_mfma_f32_32x32x4bf16 a[16+0:31+0], v[vgprValuA_X7_I0+1+0+0], v[vgprValuB_X7_I0+0+0+0], a[16:31]
	;; [unrolled: 1-line block ×4, first 2 shown]


/* closeLoop loopL finalLoop=0 tailLoop=1 */
s_sub_i32 s[sgprLoopCounterL], s[sgprLoopCounterL], 0x4 // dec counterL (tailLoop)
s_add_u32 s[sgprOrigLoopCounter], s[sgprOrigLoopCounter], 0x4 // inc counterL
s_cmp_le_i32 s[sgprLoopCounterL], 0x0              // counterL<=0
s_cbranch_scc1 TailLoopEndL_7                      // exit LoopL


/* tail loop unroll iter 8 */


/* local read a */

_ds_load_b32 v[vgprValuA_X8_I0+0], v[vgprLocalReadAddrA] offset:0 // L -> Reg lro=0 swapByteOffset=0 ti=64 vIdx=0 rIdx=0 oIdx=0 buffer=8 iui=0
_ds_load_b32 v[vgprValuA_X8_I0+1], v[vgprLocalReadAddrA] offset:8704 // L -> Reg lro=0 swapByteOffset=0 ti=64 vIdx=1 rIdx=0 oIdx=0 buffer=8 iui=0
	;; [unrolled: 1-line block ×4, first 2 shown]


/* local read b */

_ds_load_b32 v[vgprValuB_X8_I0+0], v[vgprLocalReadAddrB] offset:0 // L -> Reg lro=0 swapByteOffset=0 ti=64 vIdx=0 rIdx=0 oIdx=0 buffer=8 iui=0


/* local read inc a */

s_mov_b32 s33, 0x8                                 // inc
_v_add_co_u32 v[vgprLocalReadAddrA], vcc, s33, v[vgprLocalReadAddrA] // lrA += 8 (LSU*bpe)


/* local read inc b */

s_mov_b32 s33, 0x8                                 // inc
_v_add_co_u32 v[vgprLocalReadAddrB], vcc, s33, v[vgprLocalReadAddrB] // lrB += 8 (LSU*bpe)

s_waitcnt lgkmcnt(0)                               // lgkmcnt=0 vmcnt=-14wait for local read



/* tail loop mfma iter 8: numReadsIterCoalescedA=1, numReadsIterCoalescedB=1 */
v_and_b32 v165, 63, v[vgprSerial]                  // v165 = v[vgprSerial] % 64
v_lshrrev_b32 v165, 5, v165                        // v165 = v165 / 32
v_lshlrev_b32 v165, 0x1, v165                      // v165 = v165 * 2
v_cmp_ge_i32 s[34:35], v165, s[sgprLoopCounterL]   // check K index >= Size L
v_cndmask_b32 v[vgprValuA_X8_I0+0+0+0+0], v[vgprValuA_X8_I0+0+0+0+0], 0x0, s[34:35] // set 0 if K_idx >= sizeL
v_cndmask_b32 v[vgprValuA_X8_I0+1+0+0+0], v[vgprValuA_X8_I0+1+0+0+0], 0x0, s[34:35] // set 0 if K_idx >= sizeL
	;; [unrolled: 1-line block ×4, first 2 shown]
v_cndmask_b32 v[vgprValuB_X8_I0+0+0+0+0], v[vgprValuB_X8_I0+0+0+0+0], 0x0, s[34:35] // set 0 if K_idx >= sizeL
_v_sub_u32 v165, s[sgprLoopCounterL], v165         // get distance between size and k index
v_cmp_lt_i32 s[34:35], v165, 2                     // set partial 0 if distance less than input per thread
s_and_b32 s36, s[sgprLoopCounterL], 1              // get inputs for edge thread
s_sub_u32 s36, 2, s36                              // use shift to fill 0 for outside element
s_lshl_b32 s36, s36, 4                             // use shift to fill 0 for outside element
v_mov_b32 v166, -1                                 // set 0xffffffff
v_lshrrev_b32 v166, s36, v166                      // rshift mask for partial k
v_cndmask_b32 v166, -1, v166, s[34:35]             // select shifted mask for partial k
v_and_b32 v[vgprValuA_X8_I0+0+0+0+0], v[vgprValuA_X8_I0+0+0+0+0], v166 // 
v_and_b32 v[vgprValuA_X8_I0+1+0+0+0], v[vgprValuA_X8_I0+1+0+0+0], v166 // 
	;; [unrolled: 1-line block ×4, first 2 shown]
v_and_b32 v[vgprValuB_X8_I0+0+0+0+0], v[vgprValuB_X8_I0+0+0+0+0], v166 // 
s_nop 1
v_mfma_f32_32x32x4bf16 a[0+0:15+0], v[vgprValuA_X8_I0+0+0+0], v[vgprValuB_X8_I0+0+0+0], a[0:15]
v_mfma_f32_32x32x4bf16 a[16+0:31+0], v[vgprValuA_X8_I0+1+0+0], v[vgprValuB_X8_I0+0+0+0], a[16:31]
	;; [unrolled: 1-line block ×4, first 2 shown]


/* closeLoop loopL finalLoop=0 tailLoop=1 */
s_sub_i32 s[sgprLoopCounterL], s[sgprLoopCounterL], 0x4 // dec counterL (tailLoop)
s_add_u32 s[sgprOrigLoopCounter], s[sgprOrigLoopCounter], 0x4 // inc counterL
s_cmp_le_i32 s[sgprLoopCounterL], 0x0              // counterL<=0
s_cbranch_scc1 TailLoopEndL_7                      // exit LoopL


/* tail loop unroll iter 9 */


/* local read a */

_ds_load_b32 v[vgprValuA_X9_I0+0], v[vgprLocalReadAddrA] offset:0 // L -> Reg lro=0 swapByteOffset=0 ti=64 vIdx=0 rIdx=0 oIdx=0 buffer=9 iui=0
_ds_load_b32 v[vgprValuA_X9_I0+1], v[vgprLocalReadAddrA] offset:8704 // L -> Reg lro=0 swapByteOffset=0 ti=64 vIdx=1 rIdx=0 oIdx=0 buffer=9 iui=0
	;; [unrolled: 1-line block ×4, first 2 shown]


/* local read b */

_ds_load_b32 v[vgprValuB_X9_I0+0], v[vgprLocalReadAddrB] offset:0 // L -> Reg lro=0 swapByteOffset=0 ti=64 vIdx=0 rIdx=0 oIdx=0 buffer=9 iui=0


/* local read inc a */

s_mov_b32 s33, 0x8                                 // inc
_v_add_co_u32 v[vgprLocalReadAddrA], vcc, s33, v[vgprLocalReadAddrA] // lrA += 8 (LSU*bpe)


/* local read inc b */

s_mov_b32 s33, 0x8                                 // inc
_v_add_co_u32 v[vgprLocalReadAddrB], vcc, s33, v[vgprLocalReadAddrB] // lrB += 8 (LSU*bpe)

s_waitcnt lgkmcnt(0)                               // lgkmcnt=0 vmcnt=-14wait for local read


	;; [unrolled: 1-line block ×3, first 2 shown]
/* tail loop mfma iter 9: numReadsIterCoalescedA=1, numReadsIterCoalescedB=1 */
v_and_b32 v165, 63, v[vgprSerial]                  // v165 = v[vgprSerial] % 64
v_lshrrev_b32 v165, 5, v165                        // v165 = v165 / 32
v_lshlrev_b32 v165, 0x1, v165                      // v165 = v165 * 2
v_cmp_ge_i32 s[34:35], v165, s[sgprLoopCounterL]   // check K index >= Size L
v_cndmask_b32 v[vgprValuA_X9_I0+0+0+0+0], v[vgprValuA_X9_I0+0+0+0+0], 0x0, s[34:35] // set 0 if K_idx >= sizeL
v_cndmask_b32 v[vgprValuA_X9_I0+1+0+0+0], v[vgprValuA_X9_I0+1+0+0+0], 0x0, s[34:35] // set 0 if K_idx >= sizeL
	;; [unrolled: 1-line block ×4, first 2 shown]
v_cndmask_b32 v[vgprValuB_X9_I0+0+0+0+0], v[vgprValuB_X9_I0+0+0+0+0], 0x0, s[34:35] // set 0 if K_idx >= sizeL
_v_sub_u32 v165, s[sgprLoopCounterL], v165         // get distance between size and k index
v_cmp_lt_i32 s[34:35], v165, 2                     // set partial 0 if distance less than input per thread
s_and_b32 s36, s[sgprLoopCounterL], 1              // get inputs for edge thread
s_sub_u32 s36, 2, s36                              // use shift to fill 0 for outside element
s_lshl_b32 s36, s36, 4                             // use shift to fill 0 for outside element
v_mov_b32 v166, -1                                 // set 0xffffffff
v_lshrrev_b32 v166, s36, v166                      // rshift mask for partial k
v_cndmask_b32 v166, -1, v166, s[34:35]             // select shifted mask for partial k
v_and_b32 v[vgprValuA_X9_I0+0+0+0+0], v[vgprValuA_X9_I0+0+0+0+0], v166 // 
v_and_b32 v[vgprValuA_X9_I0+1+0+0+0], v[vgprValuA_X9_I0+1+0+0+0], v166 // 
	;; [unrolled: 1-line block ×4, first 2 shown]
v_and_b32 v[vgprValuB_X9_I0+0+0+0+0], v[vgprValuB_X9_I0+0+0+0+0], v166 // 
s_nop 1
v_mfma_f32_32x32x4bf16 a[0+0:15+0], v[vgprValuA_X9_I0+0+0+0], v[vgprValuB_X9_I0+0+0+0], a[0:15]
v_mfma_f32_32x32x4bf16 a[16+0:31+0], v[vgprValuA_X9_I0+1+0+0], v[vgprValuB_X9_I0+0+0+0], a[16:31]
	;; [unrolled: 1-line block ×4, first 2 shown]


/* closeLoop loopL finalLoop=0 tailLoop=1 */
s_sub_i32 s[sgprLoopCounterL], s[sgprLoopCounterL], 0x4 // dec counterL (tailLoop)
s_add_u32 s[sgprOrigLoopCounter], s[sgprOrigLoopCounter], 0x4 // inc counterL
s_cmp_le_i32 s[sgprLoopCounterL], 0x0              // counterL<=0
s_cbranch_scc1 TailLoopEndL_7                      // exit LoopL


/* tail loop unroll iter 10 */


/* local read a */

_ds_load_b32 v[vgprValuA_X10_I0+0], v[vgprLocalReadAddrA] offset:0 // L -> Reg lro=0 swapByteOffset=0 ti=64 vIdx=0 rIdx=0 oIdx=0 buffer=10 iui=0
_ds_load_b32 v[vgprValuA_X10_I0+1], v[vgprLocalReadAddrA] offset:8704 // L -> Reg lro=0 swapByteOffset=0 ti=64 vIdx=1 rIdx=0 oIdx=0 buffer=10 iui=0
	;; [unrolled: 1-line block ×4, first 2 shown]


/* local read b */

_ds_load_b32 v[vgprValuB_X10_I0+0], v[vgprLocalReadAddrB] offset:0 // L -> Reg lro=0 swapByteOffset=0 ti=64 vIdx=0 rIdx=0 oIdx=0 buffer=10 iui=0


/* local read inc a */

s_mov_b32 s33, 0x8                                 // inc
_v_add_co_u32 v[vgprLocalReadAddrA], vcc, s33, v[vgprLocalReadAddrA] // lrA += 8 (LSU*bpe)


/* local read inc b */

s_mov_b32 s33, 0x8                                 // inc
_v_add_co_u32 v[vgprLocalReadAddrB], vcc, s33, v[vgprLocalReadAddrB] // lrB += 8 (LSU*bpe)

s_waitcnt lgkmcnt(0)                               // lgkmcnt=0 vmcnt=-14wait for local read


	;; [unrolled: 1-line block ×3, first 2 shown]
/* tail loop mfma iter 10: numReadsIterCoalescedA=1, numReadsIterCoalescedB=1 */
v_and_b32 v165, 63, v[vgprSerial]                  // v165 = v[vgprSerial] % 64
v_lshrrev_b32 v165, 5, v165                        // v165 = v165 / 32
v_lshlrev_b32 v165, 0x1, v165                      // v165 = v165 * 2
v_cmp_ge_i32 s[34:35], v165, s[sgprLoopCounterL]   // check K index >= Size L
v_cndmask_b32 v[vgprValuA_X10_I0+0+0+0+0], v[vgprValuA_X10_I0+0+0+0+0], 0x0, s[34:35] // set 0 if K_idx >= sizeL
v_cndmask_b32 v[vgprValuA_X10_I0+1+0+0+0], v[vgprValuA_X10_I0+1+0+0+0], 0x0, s[34:35] // set 0 if K_idx >= sizeL
	;; [unrolled: 1-line block ×4, first 2 shown]
v_cndmask_b32 v[vgprValuB_X10_I0+0+0+0+0], v[vgprValuB_X10_I0+0+0+0+0], 0x0, s[34:35] // set 0 if K_idx >= sizeL
_v_sub_u32 v165, s[sgprLoopCounterL], v165         // get distance between size and k index
v_cmp_lt_i32 s[34:35], v165, 2                     // set partial 0 if distance less than input per thread
s_and_b32 s36, s[sgprLoopCounterL], 1              // get inputs for edge thread
s_sub_u32 s36, 2, s36                              // use shift to fill 0 for outside element
s_lshl_b32 s36, s36, 4                             // use shift to fill 0 for outside element
v_mov_b32 v166, -1                                 // set 0xffffffff
v_lshrrev_b32 v166, s36, v166                      // rshift mask for partial k
v_cndmask_b32 v166, -1, v166, s[34:35]             // select shifted mask for partial k
v_and_b32 v[vgprValuA_X10_I0+0+0+0+0], v[vgprValuA_X10_I0+0+0+0+0], v166 // 
v_and_b32 v[vgprValuA_X10_I0+1+0+0+0], v[vgprValuA_X10_I0+1+0+0+0], v166 // 
	;; [unrolled: 1-line block ×4, first 2 shown]
v_and_b32 v[vgprValuB_X10_I0+0+0+0+0], v[vgprValuB_X10_I0+0+0+0+0], v166 // 
s_nop 1
v_mfma_f32_32x32x4bf16 a[0+0:15+0], v[vgprValuA_X10_I0+0+0+0], v[vgprValuB_X10_I0+0+0+0], a[0:15]
v_mfma_f32_32x32x4bf16 a[16+0:31+0], v[vgprValuA_X10_I0+1+0+0], v[vgprValuB_X10_I0+0+0+0], a[16:31]
v_mfma_f32_32x32x4bf16 a[32+0:47+0], v[vgprValuA_X10_I0+2+0+0], v[vgprValuB_X10_I0+0+0+0], a[32:47]
v_mfma_f32_32x32x4bf16 a[48+0:63+0], v[vgprValuA_X10_I0+3+0+0], v[vgprValuB_X10_I0+0+0+0], a[48:63]


/* closeLoop loopL finalLoop=0 tailLoop=1 */
s_sub_i32 s[sgprLoopCounterL], s[sgprLoopCounterL], 0x4 // dec counterL (tailLoop)
s_add_u32 s[sgprOrigLoopCounter], s[sgprOrigLoopCounter], 0x4 // inc counterL
s_cmp_le_i32 s[sgprLoopCounterL], 0x0              // counterL<=0
s_cbranch_scc1 TailLoopEndL_7                      // exit LoopL


/* tail loop unroll iter 11 */


/* local read a */

_ds_load_b32 v[vgprValuA_X11_I0+0], v[vgprLocalReadAddrA] offset:0 // L -> Reg lro=0 swapByteOffset=0 ti=64 vIdx=0 rIdx=0 oIdx=0 buffer=11 iui=0
_ds_load_b32 v[vgprValuA_X11_I0+1], v[vgprLocalReadAddrA] offset:8704 // L -> Reg lro=0 swapByteOffset=0 ti=64 vIdx=1 rIdx=0 oIdx=0 buffer=11 iui=0
	;; [unrolled: 1-line block ×4, first 2 shown]


/* local read b */

_ds_load_b32 v[vgprValuB_X11_I0+0], v[vgprLocalReadAddrB] offset:0 // L -> Reg lro=0 swapByteOffset=0 ti=64 vIdx=0 rIdx=0 oIdx=0 buffer=11 iui=0


/* local read inc a */

s_mov_b32 s33, 0x8                                 // inc
_v_add_co_u32 v[vgprLocalReadAddrA], vcc, s33, v[vgprLocalReadAddrA] // lrA += 8 (LSU*bpe)


/* local read inc b */

s_mov_b32 s33, 0x8                                 // inc
_v_add_co_u32 v[vgprLocalReadAddrB], vcc, s33, v[vgprLocalReadAddrB] // lrB += 8 (LSU*bpe)

s_waitcnt lgkmcnt(0)                               // lgkmcnt=0 vmcnt=-14wait for local read


	;; [unrolled: 1-line block ×3, first 2 shown]
/* tail loop mfma iter 11: numReadsIterCoalescedA=1, numReadsIterCoalescedB=1 */
v_and_b32 v165, 63, v[vgprSerial]                  // v165 = v[vgprSerial] % 64
v_lshrrev_b32 v165, 5, v165                        // v165 = v165 / 32
v_lshlrev_b32 v165, 0x1, v165                      // v165 = v165 * 2
v_cmp_ge_i32 s[34:35], v165, s[sgprLoopCounterL]   // check K index >= Size L
v_cndmask_b32 v[vgprValuA_X11_I0+0+0+0+0], v[vgprValuA_X11_I0+0+0+0+0], 0x0, s[34:35] // set 0 if K_idx >= sizeL
v_cndmask_b32 v[vgprValuA_X11_I0+1+0+0+0], v[vgprValuA_X11_I0+1+0+0+0], 0x0, s[34:35] // set 0 if K_idx >= sizeL
	;; [unrolled: 1-line block ×4, first 2 shown]
v_cndmask_b32 v[vgprValuB_X11_I0+0+0+0+0], v[vgprValuB_X11_I0+0+0+0+0], 0x0, s[34:35] // set 0 if K_idx >= sizeL
_v_sub_u32 v165, s[sgprLoopCounterL], v165         // get distance between size and k index
v_cmp_lt_i32 s[34:35], v165, 2                     // set partial 0 if distance less than input per thread
s_and_b32 s36, s[sgprLoopCounterL], 1              // get inputs for edge thread
s_sub_u32 s36, 2, s36                              // use shift to fill 0 for outside element
s_lshl_b32 s36, s36, 4                             // use shift to fill 0 for outside element
v_mov_b32 v166, -1                                 // set 0xffffffff
v_lshrrev_b32 v166, s36, v166                      // rshift mask for partial k
v_cndmask_b32 v166, -1, v166, s[34:35]             // select shifted mask for partial k
v_and_b32 v[vgprValuA_X11_I0+0+0+0+0], v[vgprValuA_X11_I0+0+0+0+0], v166 // 
v_and_b32 v[vgprValuA_X11_I0+1+0+0+0], v[vgprValuA_X11_I0+1+0+0+0], v166 // 
	;; [unrolled: 1-line block ×4, first 2 shown]
v_and_b32 v[vgprValuB_X11_I0+0+0+0+0], v[vgprValuB_X11_I0+0+0+0+0], v166 // 
s_nop 1
v_mfma_f32_32x32x4bf16 a[0+0:15+0], v[vgprValuA_X11_I0+0+0+0], v[vgprValuB_X11_I0+0+0+0], a[0:15]
v_mfma_f32_32x32x4bf16 a[16+0:31+0], v[vgprValuA_X11_I0+1+0+0], v[vgprValuB_X11_I0+0+0+0], a[16:31]
	;; [unrolled: 1-line block ×4, first 2 shown]


/* closeLoop loopL finalLoop=0 tailLoop=1 */
s_sub_i32 s[sgprLoopCounterL], s[sgprLoopCounterL], 0x4 // dec counterL (tailLoop)
s_add_u32 s[sgprOrigLoopCounter], s[sgprOrigLoopCounter], 0x4 // inc counterL
s_cmp_le_i32 s[sgprLoopCounterL], 0x0              // counterL<=0
s_cbranch_scc1 TailLoopEndL_7                      // exit LoopL


/* tail loop unroll iter 12 */


/* local read a */

_ds_load_b32 v[vgprValuA_X12_I0+0], v[vgprLocalReadAddrA] offset:0 // L -> Reg lro=0 swapByteOffset=0 ti=64 vIdx=0 rIdx=0 oIdx=0 buffer=12 iui=0
_ds_load_b32 v[vgprValuA_X12_I0+1], v[vgprLocalReadAddrA] offset:8704 // L -> Reg lro=0 swapByteOffset=0 ti=64 vIdx=1 rIdx=0 oIdx=0 buffer=12 iui=0
_ds_load_b32 v[vgprValuA_X12_I0+2], v[vgprLocalReadAddrA] offset:17408 // L -> Reg lro=0 swapByteOffset=0 ti=64 vIdx=2 rIdx=0 oIdx=0 buffer=12 iui=0
_ds_load_b32 v[vgprValuA_X12_I0+3], v[vgprLocalReadAddrA] offset:26112 // L -> Reg lro=0 swapByteOffset=0 ti=64 vIdx=3 rIdx=0 oIdx=0 buffer=12 iui=0


/* local read b */

_ds_load_b32 v[vgprValuB_X12_I0+0], v[vgprLocalReadAddrB] offset:0 // L -> Reg lro=0 swapByteOffset=0 ti=64 vIdx=0 rIdx=0 oIdx=0 buffer=12 iui=0


/* local read inc a */

s_mov_b32 s33, 0x8                                 // inc
_v_add_co_u32 v[vgprLocalReadAddrA], vcc, s33, v[vgprLocalReadAddrA] // lrA += 8 (LSU*bpe)


/* local read inc b */

s_mov_b32 s33, 0x8                                 // inc
_v_add_co_u32 v[vgprLocalReadAddrB], vcc, s33, v[vgprLocalReadAddrB] // lrB += 8 (LSU*bpe)

s_waitcnt lgkmcnt(0)                               // lgkmcnt=0 vmcnt=-14wait for local read


	;; [unrolled: 1-line block ×3, first 2 shown]
/* tail loop mfma iter 12: numReadsIterCoalescedA=1, numReadsIterCoalescedB=1 */
v_and_b32 v165, 63, v[vgprSerial]                  // v165 = v[vgprSerial] % 64
v_lshrrev_b32 v165, 5, v165                        // v165 = v165 / 32
v_lshlrev_b32 v165, 0x1, v165                      // v165 = v165 * 2
v_cmp_ge_i32 s[34:35], v165, s[sgprLoopCounterL]   // check K index >= Size L
v_cndmask_b32 v[vgprValuA_X12_I0+0+0+0+0], v[vgprValuA_X12_I0+0+0+0+0], 0x0, s[34:35] // set 0 if K_idx >= sizeL
v_cndmask_b32 v[vgprValuA_X12_I0+1+0+0+0], v[vgprValuA_X12_I0+1+0+0+0], 0x0, s[34:35] // set 0 if K_idx >= sizeL
	;; [unrolled: 1-line block ×4, first 2 shown]
v_cndmask_b32 v[vgprValuB_X12_I0+0+0+0+0], v[vgprValuB_X12_I0+0+0+0+0], 0x0, s[34:35] // set 0 if K_idx >= sizeL
_v_sub_u32 v165, s[sgprLoopCounterL], v165         // get distance between size and k index
v_cmp_lt_i32 s[34:35], v165, 2                     // set partial 0 if distance less than input per thread
s_and_b32 s36, s[sgprLoopCounterL], 1              // get inputs for edge thread
s_sub_u32 s36, 2, s36                              // use shift to fill 0 for outside element
s_lshl_b32 s36, s36, 4                             // use shift to fill 0 for outside element
v_mov_b32 v166, -1                                 // set 0xffffffff
v_lshrrev_b32 v166, s36, v166                      // rshift mask for partial k
v_cndmask_b32 v166, -1, v166, s[34:35]             // select shifted mask for partial k
v_and_b32 v[vgprValuA_X12_I0+0+0+0+0], v[vgprValuA_X12_I0+0+0+0+0], v166 // 
v_and_b32 v[vgprValuA_X12_I0+1+0+0+0], v[vgprValuA_X12_I0+1+0+0+0], v166 // 
	;; [unrolled: 1-line block ×4, first 2 shown]
v_and_b32 v[vgprValuB_X12_I0+0+0+0+0], v[vgprValuB_X12_I0+0+0+0+0], v166 // 
s_nop 1
v_mfma_f32_32x32x4bf16 a[0+0:15+0], v[vgprValuA_X12_I0+0+0+0], v[vgprValuB_X12_I0+0+0+0], a[0:15]
v_mfma_f32_32x32x4bf16 a[16+0:31+0], v[vgprValuA_X12_I0+1+0+0], v[vgprValuB_X12_I0+0+0+0], a[16:31]
	;; [unrolled: 1-line block ×4, first 2 shown]


/* closeLoop loopL finalLoop=0 tailLoop=1 */
s_sub_i32 s[sgprLoopCounterL], s[sgprLoopCounterL], 0x4 // dec counterL (tailLoop)
s_add_u32 s[sgprOrigLoopCounter], s[sgprOrigLoopCounter], 0x4 // inc counterL
s_cmp_le_i32 s[sgprLoopCounterL], 0x0              // counterL<=0
s_cbranch_scc1 TailLoopEndL_7                      // exit LoopL


/* tail loop unroll iter 13 */


/* local read a */

_ds_load_b32 v[vgprValuA_X13_I0+0], v[vgprLocalReadAddrA] offset:0 // L -> Reg lro=0 swapByteOffset=0 ti=64 vIdx=0 rIdx=0 oIdx=0 buffer=13 iui=0
_ds_load_b32 v[vgprValuA_X13_I0+1], v[vgprLocalReadAddrA] offset:8704 // L -> Reg lro=0 swapByteOffset=0 ti=64 vIdx=1 rIdx=0 oIdx=0 buffer=13 iui=0
	;; [unrolled: 1-line block ×4, first 2 shown]


/* local read b */

_ds_load_b32 v[vgprValuB_X13_I0+0], v[vgprLocalReadAddrB] offset:0 // L -> Reg lro=0 swapByteOffset=0 ti=64 vIdx=0 rIdx=0 oIdx=0 buffer=13 iui=0


/* local read inc a */

s_mov_b32 s33, 0x8                                 // inc
_v_add_co_u32 v[vgprLocalReadAddrA], vcc, s33, v[vgprLocalReadAddrA] // lrA += 8 (LSU*bpe)


/* local read inc b */

s_mov_b32 s33, 0x8                                 // inc
_v_add_co_u32 v[vgprLocalReadAddrB], vcc, s33, v[vgprLocalReadAddrB] // lrB += 8 (LSU*bpe)

s_waitcnt lgkmcnt(0)                               // lgkmcnt=0 vmcnt=-14wait for local read


	;; [unrolled: 1-line block ×3, first 2 shown]
/* tail loop mfma iter 13: numReadsIterCoalescedA=1, numReadsIterCoalescedB=1 */
v_and_b32 v165, 63, v[vgprSerial]                  // v165 = v[vgprSerial] % 64
v_lshrrev_b32 v165, 5, v165                        // v165 = v165 / 32
v_lshlrev_b32 v165, 0x1, v165                      // v165 = v165 * 2
v_cmp_ge_i32 s[34:35], v165, s[sgprLoopCounterL]   // check K index >= Size L
v_cndmask_b32 v[vgprValuA_X13_I0+0+0+0+0], v[vgprValuA_X13_I0+0+0+0+0], 0x0, s[34:35] // set 0 if K_idx >= sizeL
v_cndmask_b32 v[vgprValuA_X13_I0+1+0+0+0], v[vgprValuA_X13_I0+1+0+0+0], 0x0, s[34:35] // set 0 if K_idx >= sizeL
	;; [unrolled: 1-line block ×4, first 2 shown]
v_cndmask_b32 v[vgprValuB_X13_I0+0+0+0+0], v[vgprValuB_X13_I0+0+0+0+0], 0x0, s[34:35] // set 0 if K_idx >= sizeL
_v_sub_u32 v165, s[sgprLoopCounterL], v165         // get distance between size and k index
v_cmp_lt_i32 s[34:35], v165, 2                     // set partial 0 if distance less than input per thread
s_and_b32 s36, s[sgprLoopCounterL], 1              // get inputs for edge thread
s_sub_u32 s36, 2, s36                              // use shift to fill 0 for outside element
s_lshl_b32 s36, s36, 4                             // use shift to fill 0 for outside element
v_mov_b32 v166, -1                                 // set 0xffffffff
v_lshrrev_b32 v166, s36, v166                      // rshift mask for partial k
v_cndmask_b32 v166, -1, v166, s[34:35]             // select shifted mask for partial k
v_and_b32 v[vgprValuA_X13_I0+0+0+0+0], v[vgprValuA_X13_I0+0+0+0+0], v166 // 
v_and_b32 v[vgprValuA_X13_I0+1+0+0+0], v[vgprValuA_X13_I0+1+0+0+0], v166 // 
	;; [unrolled: 1-line block ×4, first 2 shown]
v_and_b32 v[vgprValuB_X13_I0+0+0+0+0], v[vgprValuB_X13_I0+0+0+0+0], v166 // 
s_nop 1
v_mfma_f32_32x32x4bf16 a[0+0:15+0], v[vgprValuA_X13_I0+0+0+0], v[vgprValuB_X13_I0+0+0+0], a[0:15]
v_mfma_f32_32x32x4bf16 a[16+0:31+0], v[vgprValuA_X13_I0+1+0+0], v[vgprValuB_X13_I0+0+0+0], a[16:31]
	;; [unrolled: 1-line block ×4, first 2 shown]


/* closeLoop loopL finalLoop=0 tailLoop=1 */
s_sub_i32 s[sgprLoopCounterL], s[sgprLoopCounterL], 0x4 // dec counterL (tailLoop)
s_add_u32 s[sgprOrigLoopCounter], s[sgprOrigLoopCounter], 0x4 // inc counterL
s_cmp_le_i32 s[sgprLoopCounterL], 0x0              // counterL<=0
s_cbranch_scc1 TailLoopEndL_7                      // exit LoopL


/* tail loop unroll iter 14 */


/* local read a */

_ds_load_b32 v[vgprValuA_X14_I0+0], v[vgprLocalReadAddrA] offset:0 // L -> Reg lro=0 swapByteOffset=0 ti=64 vIdx=0 rIdx=0 oIdx=0 buffer=14 iui=0
_ds_load_b32 v[vgprValuA_X14_I0+1], v[vgprLocalReadAddrA] offset:8704 // L -> Reg lro=0 swapByteOffset=0 ti=64 vIdx=1 rIdx=0 oIdx=0 buffer=14 iui=0
	;; [unrolled: 1-line block ×4, first 2 shown]


/* local read b */

_ds_load_b32 v[vgprValuB_X14_I0+0], v[vgprLocalReadAddrB] offset:0 // L -> Reg lro=0 swapByteOffset=0 ti=64 vIdx=0 rIdx=0 oIdx=0 buffer=14 iui=0


/* local read inc a */

s_mov_b32 s33, 0x8                                 // inc
_v_add_co_u32 v[vgprLocalReadAddrA], vcc, s33, v[vgprLocalReadAddrA] // lrA += 8 (LSU*bpe)


/* local read inc b */

s_mov_b32 s33, 0x8                                 // inc
_v_add_co_u32 v[vgprLocalReadAddrB], vcc, s33, v[vgprLocalReadAddrB] // lrB += 8 (LSU*bpe)

s_waitcnt lgkmcnt(0)                               // lgkmcnt=0 vmcnt=-14wait for local read


	;; [unrolled: 1-line block ×3, first 2 shown]
/* tail loop mfma iter 14: numReadsIterCoalescedA=1, numReadsIterCoalescedB=1 */
v_and_b32 v165, 63, v[vgprSerial]                  // v165 = v[vgprSerial] % 64
v_lshrrev_b32 v165, 5, v165                        // v165 = v165 / 32
v_lshlrev_b32 v165, 0x1, v165                      // v165 = v165 * 2
v_cmp_ge_i32 s[34:35], v165, s[sgprLoopCounterL]   // check K index >= Size L
v_cndmask_b32 v[vgprValuA_X14_I0+0+0+0+0], v[vgprValuA_X14_I0+0+0+0+0], 0x0, s[34:35] // set 0 if K_idx >= sizeL
v_cndmask_b32 v[vgprValuA_X14_I0+1+0+0+0], v[vgprValuA_X14_I0+1+0+0+0], 0x0, s[34:35] // set 0 if K_idx >= sizeL
	;; [unrolled: 1-line block ×4, first 2 shown]
v_cndmask_b32 v[vgprValuB_X14_I0+0+0+0+0], v[vgprValuB_X14_I0+0+0+0+0], 0x0, s[34:35] // set 0 if K_idx >= sizeL
_v_sub_u32 v165, s[sgprLoopCounterL], v165         // get distance between size and k index
v_cmp_lt_i32 s[34:35], v165, 2                     // set partial 0 if distance less than input per thread
s_and_b32 s36, s[sgprLoopCounterL], 1              // get inputs for edge thread
s_sub_u32 s36, 2, s36                              // use shift to fill 0 for outside element
s_lshl_b32 s36, s36, 4                             // use shift to fill 0 for outside element
v_mov_b32 v166, -1                                 // set 0xffffffff
v_lshrrev_b32 v166, s36, v166                      // rshift mask for partial k
v_cndmask_b32 v166, -1, v166, s[34:35]             // select shifted mask for partial k
v_and_b32 v[vgprValuA_X14_I0+0+0+0+0], v[vgprValuA_X14_I0+0+0+0+0], v166 // 
v_and_b32 v[vgprValuA_X14_I0+1+0+0+0], v[vgprValuA_X14_I0+1+0+0+0], v166 // 
	;; [unrolled: 1-line block ×4, first 2 shown]
v_and_b32 v[vgprValuB_X14_I0+0+0+0+0], v[vgprValuB_X14_I0+0+0+0+0], v166 // 
s_nop 1
v_mfma_f32_32x32x4bf16 a[0+0:15+0], v[vgprValuA_X14_I0+0+0+0], v[vgprValuB_X14_I0+0+0+0], a[0:15]
v_mfma_f32_32x32x4bf16 a[16+0:31+0], v[vgprValuA_X14_I0+1+0+0], v[vgprValuB_X14_I0+0+0+0], a[16:31]
	;; [unrolled: 1-line block ×4, first 2 shown]


/* closeLoop loopL finalLoop=0 tailLoop=1 */
s_sub_i32 s[sgprLoopCounterL], s[sgprLoopCounterL], 0x4 // dec counterL (tailLoop)
s_add_u32 s[sgprOrigLoopCounter], s[sgprOrigLoopCounter], 0x4 // inc counterL
s_cmp_le_i32 s[sgprLoopCounterL], 0x0              // counterL<=0
s_cbranch_scc1 TailLoopEndL_7                      // exit LoopL


/* tail loop unroll iter 15 */


/* local read a */

_ds_load_b32 v[vgprValuA_X15_I0+0], v[vgprLocalReadAddrA] offset:0 // L -> Reg lro=0 swapByteOffset=0 ti=64 vIdx=0 rIdx=0 oIdx=0 buffer=15 iui=0
_ds_load_b32 v[vgprValuA_X15_I0+1], v[vgprLocalReadAddrA] offset:8704 // L -> Reg lro=0 swapByteOffset=0 ti=64 vIdx=1 rIdx=0 oIdx=0 buffer=15 iui=0
	;; [unrolled: 1-line block ×4, first 2 shown]


/* local read b */

_ds_load_b32 v[vgprValuB_X15_I0+0], v[vgprLocalReadAddrB] offset:0 // L -> Reg lro=0 swapByteOffset=0 ti=64 vIdx=0 rIdx=0 oIdx=0 buffer=15 iui=0


/* local read inc a */

s_mov_b32 s33, 0x10                                // inc
_v_add_co_u32 v[vgprLocalReadAddrA], vcc, s33, v[vgprLocalReadAddrA] // lrA += 16 (LSU*bpe)


/* local read inc b */

s_mov_b32 s33, 0x10                                // inc
_v_add_co_u32 v[vgprLocalReadAddrB], vcc, s33, v[vgprLocalReadAddrB] // lrB += 16 (LSU*bpe)

s_waitcnt lgkmcnt(0)                               // lgkmcnt=0 vmcnt=-14wait for local read


	;; [unrolled: 1-line block ×3, first 2 shown]
/* tail loop mfma iter 15: numReadsIterCoalescedA=1, numReadsIterCoalescedB=1 */
v_and_b32 v165, 63, v[vgprSerial]                  // v165 = v[vgprSerial] % 64
v_lshrrev_b32 v165, 5, v165                        // v165 = v165 / 32
v_lshlrev_b32 v165, 0x1, v165                      // v165 = v165 * 2
v_cmp_ge_i32 s[34:35], v165, s[sgprLoopCounterL]   // check K index >= Size L
v_cndmask_b32 v[vgprValuA_X15_I0+0+0+0+0], v[vgprValuA_X15_I0+0+0+0+0], 0x0, s[34:35] // set 0 if K_idx >= sizeL
v_cndmask_b32 v[vgprValuA_X15_I0+1+0+0+0], v[vgprValuA_X15_I0+1+0+0+0], 0x0, s[34:35] // set 0 if K_idx >= sizeL
	;; [unrolled: 1-line block ×4, first 2 shown]
v_cndmask_b32 v[vgprValuB_X15_I0+0+0+0+0], v[vgprValuB_X15_I0+0+0+0+0], 0x0, s[34:35] // set 0 if K_idx >= sizeL
_v_sub_u32 v165, s[sgprLoopCounterL], v165         // get distance between size and k index
v_cmp_lt_i32 s[34:35], v165, 2                     // set partial 0 if distance less than input per thread
s_and_b32 s36, s[sgprLoopCounterL], 1              // get inputs for edge thread
s_sub_u32 s36, 2, s36                              // use shift to fill 0 for outside element
s_lshl_b32 s36, s36, 4                             // use shift to fill 0 for outside element
v_mov_b32 v166, -1                                 // set 0xffffffff
v_lshrrev_b32 v166, s36, v166                      // rshift mask for partial k
v_cndmask_b32 v166, -1, v166, s[34:35]             // select shifted mask for partial k
v_and_b32 v[vgprValuA_X15_I0+0+0+0+0], v[vgprValuA_X15_I0+0+0+0+0], v166 // 
v_and_b32 v[vgprValuA_X15_I0+1+0+0+0], v[vgprValuA_X15_I0+1+0+0+0], v166 // 
	;; [unrolled: 1-line block ×4, first 2 shown]
v_and_b32 v[vgprValuB_X15_I0+0+0+0+0], v[vgprValuB_X15_I0+0+0+0+0], v166 // 
s_nop 1
v_mfma_f32_32x32x4bf16 a[0+0:15+0], v[vgprValuA_X15_I0+0+0+0], v[vgprValuB_X15_I0+0+0+0], a[0:15]
v_mfma_f32_32x32x4bf16 a[16+0:31+0], v[vgprValuA_X15_I0+1+0+0], v[vgprValuB_X15_I0+0+0+0], a[16:31]
	;; [unrolled: 1-line block ×4, first 2 shown]


/* closeLoop loopL finalLoop=1 tailLoop=1 */
s_sub_i32 s[sgprLoopCounterL], s[sgprLoopCounterL], 0x4 // dec counterL (tailLoop)
s_add_u32 s[sgprOrigLoopCounter], s[sgprOrigLoopCounter], 0x4 // inc counterL
s_cmp_le_i32 s[sgprLoopCounterL], 0x0              // counterL<=0
s_cbranch_scc0 TailLoopBeginL_6                    // restart LoopL
TailLoopEndL_7:

SkipTailLoopL_8:

Summation_End_30:
/* endSummation: add vgpr [0...162) to pool */
.set NumFullBlocks, UNDEF
.set WgmRemainder1, UNDEF
.set MagicNumberWgmRemainder1, UNDEF

/* Mapping of Acc register -> C Vgpr register */


	;; [unrolled: 1-line block ×3, first 2 shown]
/* not-LocalSplitU: global write indices */

/* computeStoreVgprs */
v_lshrrev_b32 v4, 6, v[vgprSerial]                 // v4 = v[vgprSerial] / 64
v_lshrrev_b32 v1, 1, v4                            // v1 = v4 / 2
v_mul_lo_u32 v1, 0x20, v1                          // wave coordination offset 1
v_and_b32 v5, 31, v[vgprSerial]                    // v5 = v[vgprSerial] % 32
_v_add_lshl_u32 v1, v5, v1, 0                      // coordination 1 = vwb *(wave_id1 + tid1)
v_mul_lo_u32 v2, v1, s[sgprStrideC1J]              //  offset 1
v_mul_lo_u32 v3, v1, s[sgprStrideD1J]              //  offset 1
v_and_b32 v0, 63, v[vgprSerial]                    // v0 = v[vgprSerial] % 64
v_lshrrev_b32 v0, 5, v0                            // v0 = v0 / 32
v_lshlrev_b32 v0, 0x2, v0                          // thread0 * continuous_output
v_and_b32 v5, 1, v4                                // v5 = v4 % 2
v_mul_lo_u32 v5, 0x20, v5                          // wave coordination offset 0
_v_add_lshl_u32 v0, v5, v0, 0                      // coordination 0 = vwa *(wave_id0 + tid0)
s_mul_i32 s33, 256, s[sgprWorkGroup0]              // wgp0 * MT0
_v_add_u32 v0, s33, v0                             // coord 0 = (tid0/MI_m)*4 + waveG0*MIB_m + MT0*SG0
s_mul_i32 s33, 64, s[sgprWorkGroup1]               // wgp1 * MT1
_v_add_u32 v1, s33, v1                             // coord 1 = (tid0%MI_m) + waveG1*MIB_n + MT1*SG1
/* Store Remap Local Write address */
v_lshrrev_b32 v5, 7, v[vgprSerial]                 // v5 = v[vgprSerial] / 128
v_and_b32 v4, 127, v[vgprSerial]                   // v4 = v[vgprSerial] % 128
v_mul_lo_u32 v13, 0x20, v5                         // coord1 offset of LDS for each Wave
v_and_b32 v5, 0x1f, v[vgprSerial]                  // coord1 offset of LDS for each thread
_v_add_u32 v5, v13, v5                             // coord1 offset in MacroTile
v_mov_b32 v11, 0x104                               // lds stride = MT0 + PAD
v_mul_lo_u32 v9, v5, v11                           // lds coord1 offset = Col-id* lds stride
v_lshrrev_b32 v10, 6, v4                           // v10 = v4 / 64
v_and_b32 v4, 63, v4                               // v4 = v4 % 64
v_lshrrev_b32 v12, 0x5, v4                         // tid / matrixInstN
v_lshlrev_b32 v12, 0x2, v12                        // lds coord0 offset *= 4 (each thread hold 4 element)
v_mad_u32_u24 v12, 32, v10, v12                    // coord0 += waveCoord0 * wave M shape(blockM*MiM)
_v_add_lshl_u32 v7, v9, v12, 0x1                   // local write C address

/* Store Remap Local Read address */
v_lshrrev_b32 v5, 6, v[vgprSerial]                 // v5 = v[vgprSerial] / 64
v_and_b32 v4, 63, v[vgprSerial]                    // v4 = v[vgprSerial] % 64
v_mul_lo_u32 v13, 0x10, v5                         // coord1 offset of LDS for each Wave
v_lshrrev_b32 v10, 0x6, v4                         // tid / nThreadPerCol
_v_add_u32 v6, v13, v10                            // coord1 offset in MacroTile
v_mul_lo_u32 v9, v6, v11                           // lds coord1 offset = Col-id* lds stride
v_and_b32 v12, 0x3f, v4                            // coord0 offset of LDS for each thread
v_lshlrev_b32 v12, 0x2, v12                        // lds coord0 offset *= gwvw (each thread hold gwvw element)
_v_add_lshl_u32 v8, v9, v12, 0x1                   // local read C address

/* Store Remap global write coord0 and coord1 */
v_lshrrev_b32 v5, 7, v[vgprSerial]                 // v5 = v[vgprSerial] / 128
v_and_b32 v4, 127, v[vgprSerial]                   // v4 = v[vgprSerial] % 128
v_mul_lo_u32 v13, 0x20, v5                         // coord1 offset of global memory for each Wave
v_lshrrev_b32 v5, 6, v4                            // v5 = v4 / 64
v_and_b32 v4, 63, v4                               // v4 = v4 % 64
v_mad_u32_u24 v13, 16, v5, v13                     // waveCoord1 += waveCoord0 * MiN / WaveGroupM
v_lshrrev_b32 v10, 0x6, v4                         // tid / nThreadPerCol
_v_add_u32 v6, v13, v10                            // coord1 offset in MacroTile
s_mul_i32 s34, 0x100, s[sgprWorkGroup0]            // s34 = wg0*MT0
_v_add_co_u32 v4, vcc, s34, v12                    // coord0 = coord0 + wg0 * MT0
s_mul_i32 s35, MT1, s[sgprWorkGroup1]              // <- wg1*MT1
_v_add_co_u32 v5, vcc, s35, v6                     // coord1 = tid1*VW + wg1*MT1

s_waitcnt lgkmcnt(0) & vmcnt(0)                    // force waitcnt0
s_barrier //StoreRemap Start


/* not-LocalSplitU: global write */

s_cmpk_eq_u32 s[sgprBeta], 0x0                     // Beta == 0
s_cbranch_scc0 GW_Beta_45                          // Branch if Beta is not zero

s_and_b32 s34, 255, s[sgprSizeI]                   // s34 = s[sgprSizeI] % 256
s_add_u32 s35, -0x1, s[sgprNumWorkGroups0]         // 
s_cmp_ge_u32 s[sgprWorkGroup0], s35                // wg0 >= nwg0-1 ?
s_cselect_b32 s34, s34, 0                          // set rMT0
s_cmpk_gt_u32 s34, 0x0                             // rMT0 > 0
s_cbranch_scc1 GW_B0_E1_36                         // jump if edges required
s_and_b32 s34, 63, s[sgprSizeJ]                    // s34 = s[sgprSizeJ] % 64
s_add_u32 s35, -0x1, s[sgprNumWorkGroups1]         // 
s_cmp_ge_u32 s[sgprWorkGroup1], s35                // wg1 >= nwg1-1
s_cselect_b32 s34, s34, 0                          // set rMT1
s_cmpk_gt_u32 s34, 0x0                             // rMT1 > 0
s_cbranch_scc1 GW_B0_E1_36                         // jump if edges required
GW_B0_E0_33:

/* edge=0, allocate 2 sgpr. perBatchTmpS=2 perBatchMaskS=0 perElementMaskS=0 elementsPerBatch=16 */
/* optSingleColVgpr=1 optSharedColVgpr=0 optSGPRUsage=BufferLoad_Mask optSrdIncForRow=1 */

/******************************************/
/* Global Write Alpha Batch #0 (d1,d0,vc1,vc0) = */
/*    (0,0,0,0:vw4); (0,1,0,0:vw4); (0,2,0,0:vw4); (0,3,0,0:vw4); (0,4,0,0:vw4); (0,5,0,0:vw4); (0,6,0,0:vw4); (0,7,0,0:vw4); (0,8,0,0:vw4); (0,9,0,0:vw4); (0,10,0,0:vw4); (0,11,0,0:vw4); (0,12,0,0:vw4); (0,13,0,0:vw4); (0,14,0,0:vw4); (0,15,0,0:vw4) */
/******************************************/

/* calc coords, apply mask, and issue loads (if necessary) */
/* (d1,vc1,d0,vc0)=(0,0,0,0) */
/* (d1,vc1,d0,vc0)=(0,0,1,0) */
	;; [unrolled: 1-line block ×16, first 2 shown]
_v_add_lshl_u32 v9, v3, v0, 0x1                    // optSingleColVgpr scaleToBpe: sharedAddrVgpr <- cinRowPtr + coord0, scaled by BPE. BSHERE:coord0=0, coord0Vgpr=0
v_accvgpr_read_b32 v[vgprValuC+20], acc0 // copy acc to vreg[0]
v_accvgpr_read_b32 v[vgprValuC+21], acc1 // copy acc to vreg[1]
v_accvgpr_read_b32 v[vgprValuC+22], acc2 // copy acc to vreg[2]
v_accvgpr_read_b32 v[vgprValuC+23], acc3 // copy acc to vreg[3]
v_accvgpr_read_b32 v[vgprValuC+24], acc4 // copy acc to vreg[4]
v_accvgpr_read_b32 v[vgprValuC+25], acc5 // copy acc to vreg[5]
v_accvgpr_read_b32 v[vgprValuC+26], acc6 // copy acc to vreg[6]
v_accvgpr_read_b32 v[vgprValuC+27], acc7 // copy acc to vreg[7]
v_accvgpr_read_b32 v[vgprValuC+28], acc8 // copy acc to vreg[8]
v_accvgpr_read_b32 v[vgprValuC+29], acc9 // copy acc to vreg[9]
v_accvgpr_read_b32 v[vgprValuC+30], acc10 // copy acc to vreg[10]
v_accvgpr_read_b32 v[vgprValuC+31], acc11 // copy acc to vreg[11]
v_accvgpr_read_b32 v[vgprValuC+32], acc12 // copy acc to vreg[12]
v_accvgpr_read_b32 v[vgprValuC+33], acc13 // copy acc to vreg[13]
v_accvgpr_read_b32 v[vgprValuC+34], acc14 // copy acc to vreg[14]
v_accvgpr_read_b32 v[vgprValuC+35], acc15 // copy acc to vreg[15]
v_accvgpr_read_b32 v[vgprValuC+36], acc16 // copy acc to vreg[16]
v_accvgpr_read_b32 v[vgprValuC+37], acc17 // copy acc to vreg[17]
v_accvgpr_read_b32 v[vgprValuC+38], acc18 // copy acc to vreg[18]
v_accvgpr_read_b32 v[vgprValuC+39], acc19 // copy acc to vreg[19]
v_accvgpr_read_b32 v[vgprValuC+40], acc20 // copy acc to vreg[20]
v_accvgpr_read_b32 v[vgprValuC+41], acc21 // copy acc to vreg[21]
v_accvgpr_read_b32 v[vgprValuC+42], acc22 // copy acc to vreg[22]
v_accvgpr_read_b32 v[vgprValuC+43], acc23 // copy acc to vreg[23]
v_accvgpr_read_b32 v[vgprValuC+44], acc24 // copy acc to vreg[24]
v_accvgpr_read_b32 v[vgprValuC+45], acc25 // copy acc to vreg[25]
v_accvgpr_read_b32 v[vgprValuC+46], acc26 // copy acc to vreg[26]
v_accvgpr_read_b32 v[vgprValuC+47], acc27 // copy acc to vreg[27]
v_accvgpr_read_b32 v[vgprValuC+48], acc28 // copy acc to vreg[28]
v_accvgpr_read_b32 v[vgprValuC+49], acc29 // copy acc to vreg[29]
v_accvgpr_read_b32 v[vgprValuC+50], acc30 // copy acc to vreg[30]
v_accvgpr_read_b32 v[vgprValuC+51], acc31 // copy acc to vreg[31]
v_accvgpr_read_b32 v[vgprValuC+52], acc32 // copy acc to vreg[32]
v_accvgpr_read_b32 v[vgprValuC+53], acc33 // copy acc to vreg[33]
v_accvgpr_read_b32 v[vgprValuC+54], acc34 // copy acc to vreg[34]
v_accvgpr_read_b32 v[vgprValuC+55], acc35 // copy acc to vreg[35]
v_accvgpr_read_b32 v[vgprValuC+56], acc36 // copy acc to vreg[36]
v_accvgpr_read_b32 v[vgprValuC+57], acc37 // copy acc to vreg[37]
v_accvgpr_read_b32 v[vgprValuC+58], acc38 // copy acc to vreg[38]
v_accvgpr_read_b32 v[vgprValuC+59], acc39 // copy acc to vreg[39]
v_accvgpr_read_b32 v[vgprValuC+60], acc40 // copy acc to vreg[40]
v_accvgpr_read_b32 v[vgprValuC+61], acc41 // copy acc to vreg[41]
v_accvgpr_read_b32 v[vgprValuC+62], acc42 // copy acc to vreg[42]
v_accvgpr_read_b32 v[vgprValuC+63], acc43 // copy acc to vreg[43]
v_accvgpr_read_b32 v[vgprValuC+64], acc44 // copy acc to vreg[44]
v_accvgpr_read_b32 v[vgprValuC+65], acc45 // copy acc to vreg[45]
v_accvgpr_read_b32 v[vgprValuC+66], acc46 // copy acc to vreg[46]
v_accvgpr_read_b32 v[vgprValuC+67], acc47 // copy acc to vreg[47]
v_accvgpr_read_b32 v[vgprValuC+68], acc48 // copy acc to vreg[48]
v_accvgpr_read_b32 v[vgprValuC+69], acc49 // copy acc to vreg[49]
v_accvgpr_read_b32 v[vgprValuC+70], acc50 // copy acc to vreg[50]
v_accvgpr_read_b32 v[vgprValuC+71], acc51 // copy acc to vreg[51]
v_accvgpr_read_b32 v[vgprValuC+72], acc52 // copy acc to vreg[52]
v_accvgpr_read_b32 v[vgprValuC+73], acc53 // copy acc to vreg[53]
v_accvgpr_read_b32 v[vgprValuC+74], acc54 // copy acc to vreg[54]
v_accvgpr_read_b32 v[vgprValuC+75], acc55 // copy acc to vreg[55]
v_accvgpr_read_b32 v[vgprValuC+76], acc56 // copy acc to vreg[56]
v_accvgpr_read_b32 v[vgprValuC+77], acc57 // copy acc to vreg[57]
v_accvgpr_read_b32 v[vgprValuC+78], acc58 // copy acc to vreg[58]
v_accvgpr_read_b32 v[vgprValuC+79], acc59 // copy acc to vreg[59]
v_accvgpr_read_b32 v[vgprValuC+80], acc60 // copy acc to vreg[60]
v_accvgpr_read_b32 v[vgprValuC+81], acc61 // copy acc to vreg[61]
v_accvgpr_read_b32 v[vgprValuC+82], acc62 // copy acc to vreg[62]
v_accvgpr_read_b32 v[vgprValuC+83], acc63 // copy acc to vreg[63]
s_nop 1                                            // 2 wait states required before reading vgpr

/* rC *= alpha batchElements=[(0, 0, 0, 0), (0, 1, 0, 0), (0, 2, 0, 0), (0, 3, 0, 0), (0, 4, 0, 0), (0, 5, 0, 0), (0, 6, 0, 0), (0, 7, 0, 0), (0, 8, 0, 0), (0, 9, 0, 0), (0, 10, 0, 0), (0, 11, 0, 0), (0, 12, 0, 0), (0, 13, 0, 0), (0, 14, 0, 0), (0, 15, 0, 0)] */
v_mul_f32 v[vgprValuC+20], s[sgprAlpha], v[vgprValuC+20] // *= alpha
v_mul_f32 v[vgprValuC+21], s[sgprAlpha], v[vgprValuC+21] // *= alpha
	;; [unrolled: 1-line block ×64, first 2 shown]

/* apply mask, calc new C and issue writes */
v_mov_b32 v13, 0xffff0000                          // mask for pack two bfloat16 element to 32bit
v_mov_b32 v14, 0x7fff0000                          // fp32 Nan
v_mov_b32 v15, 0x7fff                              // rounding bias for bfloat16
v_cmp_u_f32 s[34:35], v[vgprValuC+20], v[vgprValuC+20] // check Nan
v_bfe_u32 v12, v[vgprValuC+20], 16, 1              // Non-Nan case: store lsb of bf16
v_add3_u32 v12, v[vgprValuC+20], v12, v15          // Non-Nan case: add lsb and the increment for rounding
v_cndmask_b32 v[vgprValuC+20], v12, v14, s[34:35]  // 
v_lshrrev_b32 v[vgprValuC+20], 16, v[vgprValuC+20] // convert C to bf16
v_cmp_u_f32 s[34:35], v[vgprValuC+21], v[vgprValuC+21] // check Nan
v_bfe_u32 v12, v[vgprValuC+21], 16, 1              // Non-Nan case: store lsb of bf16
v_add3_u32 v12, v[vgprValuC+21], v12, v15          // Non-Nan case: add lsb and the increment for rounding
v_cndmask_b32 v[vgprValuC+21], v12, v14, s[34:35]  // 
v_and_or_b32 v20, v[vgprValuC+21], v13, v[vgprValuC+20] // pack two bf16 to dword
v_cmp_u_f32 s[34:35], v[vgprValuC+22], v[vgprValuC+22] // check Nan
v_bfe_u32 v12, v[vgprValuC+22], 16, 1              // Non-Nan case: store lsb of bf16
v_add3_u32 v12, v[vgprValuC+22], v12, v15          // Non-Nan case: add lsb and the increment for rounding
v_cndmask_b32 v[vgprValuC+22], v12, v14, s[34:35]  // 
v_lshrrev_b32 v[vgprValuC+22], 16, v[vgprValuC+22] // convert C to bf16
v_cmp_u_f32 s[34:35], v[vgprValuC+23], v[vgprValuC+23] // check Nan
v_bfe_u32 v12, v[vgprValuC+23], 16, 1              // Non-Nan case: store lsb of bf16
v_add3_u32 v12, v[vgprValuC+23], v12, v15          // Non-Nan case: add lsb and the increment for rounding
v_cndmask_b32 v[vgprValuC+23], v12, v14, s[34:35]  // 
v_and_or_b32 v21, v[vgprValuC+23], v13, v[vgprValuC+22] // pack two bf16 to dword
_ds_store_b64 v7, v[20:21], offset:0               // storeRemap lw
v_cmp_u_f32 s[34:35], v[vgprValuC+24], v[vgprValuC+24] // check Nan
v_bfe_u32 v12, v[vgprValuC+24], 16, 1              // Non-Nan case: store lsb of bf16
v_add3_u32 v12, v[vgprValuC+24], v12, v15          // Non-Nan case: add lsb and the increment for rounding
v_cndmask_b32 v[vgprValuC+24], v12, v14, s[34:35]  // 
v_lshrrev_b32 v[vgprValuC+24], 16, v[vgprValuC+24] // convert C to bf16
v_cmp_u_f32 s[34:35], v[vgprValuC+25], v[vgprValuC+25] // check Nan
v_bfe_u32 v12, v[vgprValuC+25], 16, 1              // Non-Nan case: store lsb of bf16
v_add3_u32 v12, v[vgprValuC+25], v12, v15          // Non-Nan case: add lsb and the increment for rounding
v_cndmask_b32 v[vgprValuC+25], v12, v14, s[34:35]  // 
v_and_or_b32 v24, v[vgprValuC+25], v13, v[vgprValuC+24] // pack two bf16 to dword
v_cmp_u_f32 s[34:35], v[vgprValuC+26], v[vgprValuC+26] // check Nan
v_bfe_u32 v12, v[vgprValuC+26], 16, 1              // Non-Nan case: store lsb of bf16
v_add3_u32 v12, v[vgprValuC+26], v12, v15          // Non-Nan case: add lsb and the increment for rounding
v_cndmask_b32 v[vgprValuC+26], v12, v14, s[34:35]  // 
v_lshrrev_b32 v[vgprValuC+26], 16, v[vgprValuC+26] // convert C to bf16
v_cmp_u_f32 s[34:35], v[vgprValuC+27], v[vgprValuC+27] // check Nan
v_bfe_u32 v12, v[vgprValuC+27], 16, 1              // Non-Nan case: store lsb of bf16
v_add3_u32 v12, v[vgprValuC+27], v12, v15          // Non-Nan case: add lsb and the increment for rounding
v_cndmask_b32 v[vgprValuC+27], v12, v14, s[34:35]  // 
v_and_or_b32 v25, v[vgprValuC+27], v13, v[vgprValuC+26] // pack two bf16 to dword
_ds_store_b64 v7, v[24:25], offset:16              // storeRemap lw
v_cmp_u_f32 s[34:35], v[vgprValuC+28], v[vgprValuC+28] // check Nan
v_bfe_u32 v12, v[vgprValuC+28], 16, 1              // Non-Nan case: store lsb of bf16
v_add3_u32 v12, v[vgprValuC+28], v12, v15          // Non-Nan case: add lsb and the increment for rounding
v_cndmask_b32 v[vgprValuC+28], v12, v14, s[34:35]  // 
v_lshrrev_b32 v[vgprValuC+28], 16, v[vgprValuC+28] // convert C to bf16
v_cmp_u_f32 s[34:35], v[vgprValuC+29], v[vgprValuC+29] // check Nan
v_bfe_u32 v12, v[vgprValuC+29], 16, 1              // Non-Nan case: store lsb of bf16
v_add3_u32 v12, v[vgprValuC+29], v12, v15          // Non-Nan case: add lsb and the increment for rounding
v_cndmask_b32 v[vgprValuC+29], v12, v14, s[34:35]  // 
v_and_or_b32 v28, v[vgprValuC+29], v13, v[vgprValuC+28] // pack two bf16 to dword
v_cmp_u_f32 s[34:35], v[vgprValuC+30], v[vgprValuC+30] // check Nan
v_bfe_u32 v12, v[vgprValuC+30], 16, 1              // Non-Nan case: store lsb of bf16
v_add3_u32 v12, v[vgprValuC+30], v12, v15          // Non-Nan case: add lsb and the increment for rounding
v_cndmask_b32 v[vgprValuC+30], v12, v14, s[34:35]  // 
v_lshrrev_b32 v[vgprValuC+30], 16, v[vgprValuC+30] // convert C to bf16
v_cmp_u_f32 s[34:35], v[vgprValuC+31], v[vgprValuC+31] // check Nan
v_bfe_u32 v12, v[vgprValuC+31], 16, 1              // Non-Nan case: store lsb of bf16
v_add3_u32 v12, v[vgprValuC+31], v12, v15          // Non-Nan case: add lsb and the increment for rounding
v_cndmask_b32 v[vgprValuC+31], v12, v14, s[34:35]  // 
v_and_or_b32 v29, v[vgprValuC+31], v13, v[vgprValuC+30] // pack two bf16 to dword
_ds_store_b64 v7, v[28:29], offset:32              // storeRemap lw
	;; [unrolled: 21-line block ×3, first 2 shown]
v_cmp_u_f32 s[34:35], v[vgprValuC+36], v[vgprValuC+36] // check Nan
v_bfe_u32 v12, v[vgprValuC+36], 16, 1              // Non-Nan case: store lsb of bf16
v_add3_u32 v12, v[vgprValuC+36], v12, v15          // Non-Nan case: add lsb and the increment for rounding
v_cndmask_b32 v[vgprValuC+36], v12, v14, s[34:35]  // 
v_lshrrev_b32 v[vgprValuC+36], 16, v[vgprValuC+36] // convert C to bf16
v_cmp_u_f32 s[34:35], v[vgprValuC+37], v[vgprValuC+37] // check Nan
v_bfe_u32 v12, v[vgprValuC+37], 16, 1              // Non-Nan case: store lsb of bf16
v_add3_u32 v12, v[vgprValuC+37], v12, v15          // Non-Nan case: add lsb and the increment for rounding
v_cndmask_b32 v[vgprValuC+37], v12, v14, s[34:35]  // 
v_and_or_b32 v36, v[vgprValuC+37], v13, v[vgprValuC+36] // pack two bf16 to dword
v_cmp_u_f32 s[34:35], v[vgprValuC+38], v[vgprValuC+38] // check Nan
v_bfe_u32 v12, v[vgprValuC+38], 16, 1              // Non-Nan case: store lsb of bf16
v_add3_u32 v12, v[vgprValuC+38], v12, v15          // Non-Nan case: add lsb and the increment for rounding
v_cndmask_b32 v[vgprValuC+38], v12, v14, s[34:35]  // 
v_lshrrev_b32 v[vgprValuC+38], 16, v[vgprValuC+38] // convert C to bf16
v_cmp_u_f32 s[34:35], v[vgprValuC+39], v[vgprValuC+39] // check Nan
v_bfe_u32 v12, v[vgprValuC+39], 16, 1              // Non-Nan case: store lsb of bf16
v_add3_u32 v12, v[vgprValuC+39], v12, v15          // Non-Nan case: add lsb and the increment for rounding
v_cndmask_b32 v[vgprValuC+39], v12, v14, s[34:35]  // 
v_and_or_b32 v37, v[vgprValuC+39], v13, v[vgprValuC+38] // pack two bf16 to dword
_ds_store_b64 v7, v[36:37], offset:128             // storeRemap lw
v_cmp_u_f32 s[34:35], v[vgprValuC+40], v[vgprValuC+40] // check Nan
v_bfe_u32 v12, v[vgprValuC+40], 16, 1              // Non-Nan case: store lsb of bf16
v_add3_u32 v12, v[vgprValuC+40], v12, v15          // Non-Nan case: add lsb and the increment for rounding
v_cndmask_b32 v[vgprValuC+40], v12, v14, s[34:35]  // 
v_lshrrev_b32 v[vgprValuC+40], 16, v[vgprValuC+40] // convert C to bf16
v_cmp_u_f32 s[34:35], v[vgprValuC+41], v[vgprValuC+41] // check Nan
v_bfe_u32 v12, v[vgprValuC+41], 16, 1              // Non-Nan case: store lsb of bf16
v_add3_u32 v12, v[vgprValuC+41], v12, v15          // Non-Nan case: add lsb and the increment for rounding
v_cndmask_b32 v[vgprValuC+41], v12, v14, s[34:35]  // 
v_and_or_b32 v40, v[vgprValuC+41], v13, v[vgprValuC+40] // pack two bf16 to dword
v_cmp_u_f32 s[34:35], v[vgprValuC+42], v[vgprValuC+42] // check Nan
v_bfe_u32 v12, v[vgprValuC+42], 16, 1              // Non-Nan case: store lsb of bf16
v_add3_u32 v12, v[vgprValuC+42], v12, v15          // Non-Nan case: add lsb and the increment for rounding
v_cndmask_b32 v[vgprValuC+42], v12, v14, s[34:35]  // 
v_lshrrev_b32 v[vgprValuC+42], 16, v[vgprValuC+42] // convert C to bf16
v_cmp_u_f32 s[34:35], v[vgprValuC+43], v[vgprValuC+43] // check Nan
v_bfe_u32 v12, v[vgprValuC+43], 16, 1              // Non-Nan case: store lsb of bf16
v_add3_u32 v12, v[vgprValuC+43], v12, v15          // Non-Nan case: add lsb and the increment for rounding
v_cndmask_b32 v[vgprValuC+43], v12, v14, s[34:35]  // 
v_and_or_b32 v41, v[vgprValuC+43], v13, v[vgprValuC+42] // pack two bf16 to dword
_ds_store_b64 v7, v[40:41], offset:144             // storeRemap lw
	;; [unrolled: 21-line block ×12, first 2 shown]

/* Handle local read and global write */
s_waitcnt lgkmcnt(0)                               // wait for LDS write
s_barrier //wait all lds write finished

_ds_load_b64 v[18:19], v8, offset:0                // storeRemap lr
_ds_load_b64 v[20:21], v8, offset:520              // storeRemap lr
_ds_load_b64 v[22:23], v8, offset:1040             // storeRemap lr
_ds_load_b64 v[24:25], v8, offset:1560             // storeRemap lr
	;; [unrolled: 1-line block ×14, first 2 shown]

v_mov_b32 v17, v6                                  // coord1
v_mul_lo_u32 v17, v17, s[sgprStrideD1J]            // coord1 offset =  coord1 * StrideD
_v_add_lshl_u32 v17, v17, v4, 0x1                  // global write D address
s_waitcnt lgkmcnt(15)                              // wait for LDS read
_buffer_store_b64 v[18:19], v17, s[sgprSrdD:sgprSrdD+3], 0, offen, offset:0 // store D
_v_add_u32 v17, v6, 1                              // coord1 += nColPerLoad
v_mul_lo_u32 v17, v17, s[sgprStrideD1J]            // coord1 offset =  coord1 * StrideD
_v_add_lshl_u32 v17, v17, v4, 0x1                  // global write D address
s_waitcnt lgkmcnt(14)                              // wait for LDS read
_buffer_store_b64 v[20:21], v17, s[sgprSrdD:sgprSrdD+3], 0, offen, offset:0 // store D
_v_add_u32 v17, v6, 2                              // coord1 += nColPerLoad
	;; [unrolled: 5-line block ×6, first 2 shown]
v_mul_lo_u32 v17, v17, s[sgprStrideD1J]            // coord1 offset =  coord1 * StrideD
_v_add_lshl_u32 v17, v17, v4, 0x1                  // global write D address
s_waitcnt lgkmcnt(9)                               // wait for LDS read
_buffer_store_b64 v[30:31], v17, s[sgprSrdD:sgprSrdD+3], 0, offen, offset:0 // store D
_v_add_u32 v17, v6, 7                              // coord1 += nColPerLoad
v_mul_lo_u32 v17, v17, s[sgprStrideD1J]            // coord1 offset =  coord1 * StrideD
_v_add_lshl_u32 v17, v17, v4, 0x1                  // global write D address
s_waitcnt lgkmcnt(8)                               // wait for LDS read
_buffer_store_b64 v[32:33], v17, s[sgprSrdD:sgprSrdD+3], 0, offen, offset:0 // store D
_v_add_u32 v17, v6, 8                              // coord1 += nColPerLoad
	;; [unrolled: 5-line block ×3, first 2 shown]
v_mul_lo_u32 v17, v17, s[sgprStrideD1J]            // coord1 offset =  coord1 * StrideD
_v_add_lshl_u32 v17, v17, v4, 0x1                  // global write D address
s_waitcnt lgkmcnt(6)                               // wait for LDS read
_buffer_store_b64 v[36:37], v17, s[sgprSrdD:sgprSrdD+3], 0, offen, offset:0 // store D
_v_add_u32 v17, v6, 10                             // coord1 += nColPerLoad
v_mul_lo_u32 v17, v17, s[sgprStrideD1J]            // coord1 offset =  coord1 * StrideD
_v_add_lshl_u32 v17, v17, v4, 0x1                  // global write D address
s_waitcnt lgkmcnt(5)                               // wait for LDS read
_buffer_store_b64 v[38:39], v17, s[sgprSrdD:sgprSrdD+3], 0, offen, offset:0 // store D
_v_add_u32 v17, v6, 11                             // coord1 += nColPerLoad
	;; [unrolled: 5-line block ×6, first 2 shown]
v_mul_lo_u32 v17, v17, s[sgprStrideD1J]            // coord1 offset =  coord1 * StrideD
_v_add_lshl_u32 v17, v17, v4, 0x1                  // global write D address
s_waitcnt lgkmcnt(0)                               // wait for LDS read
_buffer_store_b64 v[48:49], v17, s[sgprSrdD:sgprSrdD+3], 0, offen, offset:0 // store D

s_barrier //wait all lds read finished
s_nop 0                                            // 1 wait state required when next inst writes vgprs held by previous dwordx4 store inst
s_branch label_GW_End_44                           // jump to end
GW_B0_E1_36:

/* edge=0, allocate 6 sgpr. perBatchTmpS=4 perBatchMaskS=2 perElementMaskS=0 elementsPerBatch=16 */
/* optSingleColVgpr=0 optSharedColVgpr=0 optSGPRUsage=BufferLoad_Edge_Mask optSrdIncForRow=1 */

/******************************************/
/* Global Write Alpha Edge Batch #0 (d1,d0,vc1,vc0) = */
/*    (0,0,0,0:vw4); (0,1,0,0:vw4); (0,2,0,0:vw4); (0,3,0,0:vw4); (0,4,0,0:vw4); (0,5,0,0:vw4); (0,6,0,0:vw4); (0,7,0,0:vw4); (0,8,0,0:vw4); (0,9,0,0:vw4); (0,10,0,0:vw4); (0,11,0,0:vw4); (0,12,0,0:vw4); (0,13,0,0:vw4); (0,14,0,0:vw4); (0,15,0,0:vw4) */
/******************************************/

/* calc coords, apply mask, and issue loads (if necessary) */
/* (d1,vc1,d0,vc0)=(0,0,0,0) */
_v_add_lshl_u32 v9, v3, v0, 0x1                    // scaleToBpe: accumulate d0 lower and *= bpe into Cin addr
/* (d1,vc1,d0,vc0)=(0,0,1,0) */
_v_add_co_u32 v10, vcc, v0, 8                      // coord0.1: coord0 += d0*sg0*VW + vc0
_v_add_lshl_u32 v20, v3, v10, 0x1                  // scaleToBpe: accumulate d0 lower and *= bpe into Cin addr
/* (d1,vc1,d0,vc0)=(0,0,2,0) */
_v_add_co_u32 v10, vcc, v0, 16                     // coord0.1: coord0 += d0*sg0*VW + vc0
_v_add_lshl_u32 v21, v3, v10, 0x1                  // scaleToBpe: accumulate d0 lower and *= bpe into Cin addr
/* (d1,vc1,d0,vc0)=(0,0,3,0) */
_v_add_co_u32 v10, vcc, v0, 24                     // coord0.1: coord0 += d0*sg0*VW + vc0
	;; [unrolled: 3-line block ×3, first 2 shown]
_v_add_lshl_u32 v23, v3, v10, 0x1                  // scaleToBpe: accumulate d0 lower and *= bpe into Cin addr
/* (d1,vc1,d0,vc0)=(0,0,5,0) */
s_mov_b32 s34, 72                                  // coordOffset0 d0=5 vc0=0
_v_add_co_u32 v10, vcc, v0, s34                    // coord0.2: coord0 += d0*sg0*VW + vc0
_v_add_lshl_u32 v40, v3, v10, 0x1                  // scaleToBpe: accumulate d0 lower and *= bpe into Cin addr
/* (d1,vc1,d0,vc0)=(0,0,6,0) */
s_mov_b32 s34, 80                                  // coordOffset0 d0=6 vc0=0
_v_add_co_u32 v10, vcc, v0, s34                    // coord0.2: coord0 += d0*sg0*VW + vc0
	;; [unrolled: 4-line block ×3, first 2 shown]
_v_add_lshl_u32 v42, v3, v10, 0x1                  // scaleToBpe: accumulate d0 lower and *= bpe into Cin addr
/* (d1,vc1,d0,vc0)=(0,0,8,0) */
s_mov_b32 s34, 128                                 // coordOffset0 d0=8 vc0=0
_v_add_co_u32 v10, vcc, v0, s34                    // coord0.2: coord0 += d0*sg0*VW + vc0
_v_add_lshl_u32 v43, v3, v10, 0x1                  // scaleToBpe: accumulate d0 lower and *= bpe into Cin addr
/* (d1,vc1,d0,vc0)=(0,0,9,0) */
s_mov_b32 s34, 136                                 // coordOffset0 d0=9 vc0=0
_v_add_co_u32 v10, vcc, v0, s34                    // coord0.2: coord0 += d0*sg0*VW + vc0
	;; [unrolled: 4-line block ×8, first 2 shown]
_v_add_lshl_u32 v82, v3, v10, 0x1                  // scaleToBpe: accumulate d0 lower and *= bpe into Cin addr
v_accvgpr_read_b32 v[vgprValuC+16], acc0 // copy acc to vreg[0]
v_accvgpr_read_b32 v[vgprValuC+17], acc1 // copy acc to vreg[1]
v_accvgpr_read_b32 v[vgprValuC+18], acc2 // copy acc to vreg[2]
v_accvgpr_read_b32 v[vgprValuC+19], acc3 // copy acc to vreg[3]
v_accvgpr_read_b32 v[vgprValuC+24], acc4 // copy acc to vreg[4]
v_accvgpr_read_b32 v[vgprValuC+25], acc5 // copy acc to vreg[5]
v_accvgpr_read_b32 v[vgprValuC+26], acc6 // copy acc to vreg[6]
v_accvgpr_read_b32 v[vgprValuC+27], acc7 // copy acc to vreg[7]
v_accvgpr_read_b32 v[vgprValuC+28], acc8 // copy acc to vreg[8]
v_accvgpr_read_b32 v[vgprValuC+29], acc9 // copy acc to vreg[9]
v_accvgpr_read_b32 v[vgprValuC+30], acc10 // copy acc to vreg[10]
v_accvgpr_read_b32 v[vgprValuC+31], acc11 // copy acc to vreg[11]
v_accvgpr_read_b32 v[vgprValuC+32], acc12 // copy acc to vreg[12]
v_accvgpr_read_b32 v[vgprValuC+33], acc13 // copy acc to vreg[13]
v_accvgpr_read_b32 v[vgprValuC+34], acc14 // copy acc to vreg[14]
v_accvgpr_read_b32 v[vgprValuC+35], acc15 // copy acc to vreg[15]
v_accvgpr_read_b32 v[vgprValuC+36], acc16 // copy acc to vreg[16]
v_accvgpr_read_b32 v[vgprValuC+37], acc17 // copy acc to vreg[17]
v_accvgpr_read_b32 v[vgprValuC+38], acc18 // copy acc to vreg[18]
v_accvgpr_read_b32 v[vgprValuC+39], acc19 // copy acc to vreg[19]
v_accvgpr_read_b32 v[vgprValuC+44], acc20 // copy acc to vreg[20]
v_accvgpr_read_b32 v[vgprValuC+45], acc21 // copy acc to vreg[21]
v_accvgpr_read_b32 v[vgprValuC+46], acc22 // copy acc to vreg[22]
v_accvgpr_read_b32 v[vgprValuC+47], acc23 // copy acc to vreg[23]
v_accvgpr_read_b32 v[vgprValuC+48], acc24 // copy acc to vreg[24]
v_accvgpr_read_b32 v[vgprValuC+49], acc25 // copy acc to vreg[25]
v_accvgpr_read_b32 v[vgprValuC+50], acc26 // copy acc to vreg[26]
v_accvgpr_read_b32 v[vgprValuC+51], acc27 // copy acc to vreg[27]
v_accvgpr_read_b32 v[vgprValuC+52], acc28 // copy acc to vreg[28]
v_accvgpr_read_b32 v[vgprValuC+53], acc29 // copy acc to vreg[29]
v_accvgpr_read_b32 v[vgprValuC+54], acc30 // copy acc to vreg[30]
v_accvgpr_read_b32 v[vgprValuC+55], acc31 // copy acc to vreg[31]
v_accvgpr_read_b32 v[vgprValuC+56], acc32 // copy acc to vreg[32]
v_accvgpr_read_b32 v[vgprValuC+57], acc33 // copy acc to vreg[33]
v_accvgpr_read_b32 v[vgprValuC+58], acc34 // copy acc to vreg[34]
v_accvgpr_read_b32 v[vgprValuC+59], acc35 // copy acc to vreg[35]
v_accvgpr_read_b32 v[vgprValuC+64], acc36 // copy acc to vreg[36]
v_accvgpr_read_b32 v[vgprValuC+65], acc37 // copy acc to vreg[37]
v_accvgpr_read_b32 v[vgprValuC+66], acc38 // copy acc to vreg[38]
v_accvgpr_read_b32 v[vgprValuC+67], acc39 // copy acc to vreg[39]
v_accvgpr_read_b32 v[vgprValuC+68], acc40 // copy acc to vreg[40]
v_accvgpr_read_b32 v[vgprValuC+69], acc41 // copy acc to vreg[41]
v_accvgpr_read_b32 v[vgprValuC+70], acc42 // copy acc to vreg[42]
v_accvgpr_read_b32 v[vgprValuC+71], acc43 // copy acc to vreg[43]
v_accvgpr_read_b32 v[vgprValuC+72], acc44 // copy acc to vreg[44]
v_accvgpr_read_b32 v[vgprValuC+73], acc45 // copy acc to vreg[45]
v_accvgpr_read_b32 v[vgprValuC+74], acc46 // copy acc to vreg[46]
v_accvgpr_read_b32 v[vgprValuC+75], acc47 // copy acc to vreg[47]
v_accvgpr_read_b32 v[vgprValuC+76], acc48 // copy acc to vreg[48]
v_accvgpr_read_b32 v[vgprValuC+77], acc49 // copy acc to vreg[49]
v_accvgpr_read_b32 v[vgprValuC+78], acc50 // copy acc to vreg[50]
v_accvgpr_read_b32 v[vgprValuC+79], acc51 // copy acc to vreg[51]
v_accvgpr_read_b32 v[vgprValuC+84], acc52 // copy acc to vreg[52]
v_accvgpr_read_b32 v[vgprValuC+85], acc53 // copy acc to vreg[53]
v_accvgpr_read_b32 v[vgprValuC+86], acc54 // copy acc to vreg[54]
v_accvgpr_read_b32 v[vgprValuC+87], acc55 // copy acc to vreg[55]
v_accvgpr_read_b32 v[vgprValuC+88], acc56 // copy acc to vreg[56]
v_accvgpr_read_b32 v[vgprValuC+89], acc57 // copy acc to vreg[57]
v_accvgpr_read_b32 v[vgprValuC+90], acc58 // copy acc to vreg[58]
v_accvgpr_read_b32 v[vgprValuC+91], acc59 // copy acc to vreg[59]
v_accvgpr_read_b32 v[vgprValuC+92], acc60 // copy acc to vreg[60]
v_accvgpr_read_b32 v[vgprValuC+93], acc61 // copy acc to vreg[61]
v_accvgpr_read_b32 v[vgprValuC+94], acc62 // copy acc to vreg[62]
v_accvgpr_read_b32 v[vgprValuC+95], acc63 // copy acc to vreg[63]
s_nop 1                                            // 2 wait states required before reading vgpr

/* rC *= alpha batchElements=[(0, 0, 0, 0), (0, 1, 0, 0), (0, 2, 0, 0), (0, 3, 0, 0), (0, 4, 0, 0), (0, 5, 0, 0), (0, 6, 0, 0), (0, 7, 0, 0), (0, 8, 0, 0), (0, 9, 0, 0), (0, 10, 0, 0), (0, 11, 0, 0), (0, 12, 0, 0), (0, 13, 0, 0), (0, 14, 0, 0), (0, 15, 0, 0)] */
v_mul_f32 v[vgprValuC+16], s[sgprAlpha], v[vgprValuC+16] // *= alpha
v_mul_f32 v[vgprValuC+17], s[sgprAlpha], v[vgprValuC+17] // *= alpha
	;; [unrolled: 1-line block ×64, first 2 shown]

/* apply mask, calc new C and issue writes */
v_mov_b32 v13, 0xffff0000                          // mask for pack two bfloat16 element to 32bit
v_mov_b32 v14, 0x7fff0000                          // fp32 Nan
v_mov_b32 v15, 0x7fff                              // rounding bias for bfloat16
v_cmp_u_f32 s[34:35], v[vgprValuC+16], v[vgprValuC+16] // check Nan
v_bfe_u32 v12, v[vgprValuC+16], 16, 1              // Non-Nan case: store lsb of bf16
v_add3_u32 v12, v[vgprValuC+16], v12, v15          // Non-Nan case: add lsb and the increment for rounding
v_cndmask_b32 v[vgprValuC+16], v12, v14, s[34:35]  // 
v_lshrrev_b32 v[vgprValuC+16], 16, v[vgprValuC+16] // convert C to bf16
v_cmp_u_f32 s[34:35], v[vgprValuC+17], v[vgprValuC+17] // check Nan
v_bfe_u32 v12, v[vgprValuC+17], 16, 1              // Non-Nan case: store lsb of bf16
v_add3_u32 v12, v[vgprValuC+17], v12, v15          // Non-Nan case: add lsb and the increment for rounding
v_cndmask_b32 v[vgprValuC+17], v12, v14, s[34:35]  // 
v_and_or_b32 v16, v[vgprValuC+17], v13, v[vgprValuC+16] // pack two bf16 to dword
v_cmp_u_f32 s[34:35], v[vgprValuC+18], v[vgprValuC+18] // check Nan
v_bfe_u32 v12, v[vgprValuC+18], 16, 1              // Non-Nan case: store lsb of bf16
v_add3_u32 v12, v[vgprValuC+18], v12, v15          // Non-Nan case: add lsb and the increment for rounding
v_cndmask_b32 v[vgprValuC+18], v12, v14, s[34:35]  // 
v_lshrrev_b32 v[vgprValuC+18], 16, v[vgprValuC+18] // convert C to bf16
v_cmp_u_f32 s[34:35], v[vgprValuC+19], v[vgprValuC+19] // check Nan
v_bfe_u32 v12, v[vgprValuC+19], 16, 1              // Non-Nan case: store lsb of bf16
v_add3_u32 v12, v[vgprValuC+19], v12, v15          // Non-Nan case: add lsb and the increment for rounding
v_cndmask_b32 v[vgprValuC+19], v12, v14, s[34:35]  // 
v_and_or_b32 v17, v[vgprValuC+19], v13, v[vgprValuC+18] // pack two bf16 to dword
_ds_store_b64 v7, v[16:17], offset:0               // storeRemap lw
v_cmp_u_f32 s[34:35], v[vgprValuC+24], v[vgprValuC+24] // check Nan
v_bfe_u32 v12, v[vgprValuC+24], 16, 1              // Non-Nan case: store lsb of bf16
v_add3_u32 v12, v[vgprValuC+24], v12, v15          // Non-Nan case: add lsb and the increment for rounding
v_cndmask_b32 v[vgprValuC+24], v12, v14, s[34:35]  // 
v_lshrrev_b32 v[vgprValuC+24], 16, v[vgprValuC+24] // convert C to bf16
v_cmp_u_f32 s[34:35], v[vgprValuC+25], v[vgprValuC+25] // check Nan
v_bfe_u32 v12, v[vgprValuC+25], 16, 1              // Non-Nan case: store lsb of bf16
v_add3_u32 v12, v[vgprValuC+25], v12, v15          // Non-Nan case: add lsb and the increment for rounding
v_cndmask_b32 v[vgprValuC+25], v12, v14, s[34:35]  // 
v_and_or_b32 v24, v[vgprValuC+25], v13, v[vgprValuC+24] // pack two bf16 to dword
v_cmp_u_f32 s[34:35], v[vgprValuC+26], v[vgprValuC+26] // check Nan
v_bfe_u32 v12, v[vgprValuC+26], 16, 1              // Non-Nan case: store lsb of bf16
v_add3_u32 v12, v[vgprValuC+26], v12, v15          // Non-Nan case: add lsb and the increment for rounding
v_cndmask_b32 v[vgprValuC+26], v12, v14, s[34:35]  // 
v_lshrrev_b32 v[vgprValuC+26], 16, v[vgprValuC+26] // convert C to bf16
v_cmp_u_f32 s[34:35], v[vgprValuC+27], v[vgprValuC+27] // check Nan
v_bfe_u32 v12, v[vgprValuC+27], 16, 1              // Non-Nan case: store lsb of bf16
v_add3_u32 v12, v[vgprValuC+27], v12, v15          // Non-Nan case: add lsb and the increment for rounding
v_cndmask_b32 v[vgprValuC+27], v12, v14, s[34:35]  // 
v_and_or_b32 v25, v[vgprValuC+27], v13, v[vgprValuC+26] // pack two bf16 to dword
_ds_store_b64 v7, v[24:25], offset:16              // storeRemap lw
v_cmp_u_f32 s[34:35], v[vgprValuC+28], v[vgprValuC+28] // check Nan
v_bfe_u32 v12, v[vgprValuC+28], 16, 1              // Non-Nan case: store lsb of bf16
v_add3_u32 v12, v[vgprValuC+28], v12, v15          // Non-Nan case: add lsb and the increment for rounding
v_cndmask_b32 v[vgprValuC+28], v12, v14, s[34:35]  // 
v_lshrrev_b32 v[vgprValuC+28], 16, v[vgprValuC+28] // convert C to bf16
v_cmp_u_f32 s[34:35], v[vgprValuC+29], v[vgprValuC+29] // check Nan
v_bfe_u32 v12, v[vgprValuC+29], 16, 1              // Non-Nan case: store lsb of bf16
v_add3_u32 v12, v[vgprValuC+29], v12, v15          // Non-Nan case: add lsb and the increment for rounding
v_cndmask_b32 v[vgprValuC+29], v12, v14, s[34:35]  // 
v_and_or_b32 v28, v[vgprValuC+29], v13, v[vgprValuC+28] // pack two bf16 to dword
v_cmp_u_f32 s[34:35], v[vgprValuC+30], v[vgprValuC+30] // check Nan
v_bfe_u32 v12, v[vgprValuC+30], 16, 1              // Non-Nan case: store lsb of bf16
v_add3_u32 v12, v[vgprValuC+30], v12, v15          // Non-Nan case: add lsb and the increment for rounding
v_cndmask_b32 v[vgprValuC+30], v12, v14, s[34:35]  // 
v_lshrrev_b32 v[vgprValuC+30], 16, v[vgprValuC+30] // convert C to bf16
v_cmp_u_f32 s[34:35], v[vgprValuC+31], v[vgprValuC+31] // check Nan
v_bfe_u32 v12, v[vgprValuC+31], 16, 1              // Non-Nan case: store lsb of bf16
v_add3_u32 v12, v[vgprValuC+31], v12, v15          // Non-Nan case: add lsb and the increment for rounding
v_cndmask_b32 v[vgprValuC+31], v12, v14, s[34:35]  // 
v_and_or_b32 v29, v[vgprValuC+31], v13, v[vgprValuC+30] // pack two bf16 to dword
_ds_store_b64 v7, v[28:29], offset:32              // storeRemap lw
	;; [unrolled: 21-line block ×3, first 2 shown]
v_cmp_u_f32 s[34:35], v[vgprValuC+36], v[vgprValuC+36] // check Nan
v_bfe_u32 v12, v[vgprValuC+36], 16, 1              // Non-Nan case: store lsb of bf16
v_add3_u32 v12, v[vgprValuC+36], v12, v15          // Non-Nan case: add lsb and the increment for rounding
v_cndmask_b32 v[vgprValuC+36], v12, v14, s[34:35]  // 
v_lshrrev_b32 v[vgprValuC+36], 16, v[vgprValuC+36] // convert C to bf16
v_cmp_u_f32 s[34:35], v[vgprValuC+37], v[vgprValuC+37] // check Nan
v_bfe_u32 v12, v[vgprValuC+37], 16, 1              // Non-Nan case: store lsb of bf16
v_add3_u32 v12, v[vgprValuC+37], v12, v15          // Non-Nan case: add lsb and the increment for rounding
v_cndmask_b32 v[vgprValuC+37], v12, v14, s[34:35]  // 
v_and_or_b32 v36, v[vgprValuC+37], v13, v[vgprValuC+36] // pack two bf16 to dword
v_cmp_u_f32 s[34:35], v[vgprValuC+38], v[vgprValuC+38] // check Nan
v_bfe_u32 v12, v[vgprValuC+38], 16, 1              // Non-Nan case: store lsb of bf16
v_add3_u32 v12, v[vgprValuC+38], v12, v15          // Non-Nan case: add lsb and the increment for rounding
v_cndmask_b32 v[vgprValuC+38], v12, v14, s[34:35]  // 
v_lshrrev_b32 v[vgprValuC+38], 16, v[vgprValuC+38] // convert C to bf16
v_cmp_u_f32 s[34:35], v[vgprValuC+39], v[vgprValuC+39] // check Nan
v_bfe_u32 v12, v[vgprValuC+39], 16, 1              // Non-Nan case: store lsb of bf16
v_add3_u32 v12, v[vgprValuC+39], v12, v15          // Non-Nan case: add lsb and the increment for rounding
v_cndmask_b32 v[vgprValuC+39], v12, v14, s[34:35]  // 
v_and_or_b32 v37, v[vgprValuC+39], v13, v[vgprValuC+38] // pack two bf16 to dword
_ds_store_b64 v7, v[36:37], offset:128             // storeRemap lw
v_cmp_u_f32 s[34:35], v[vgprValuC+44], v[vgprValuC+44] // check Nan
v_bfe_u32 v12, v[vgprValuC+44], 16, 1              // Non-Nan case: store lsb of bf16
v_add3_u32 v12, v[vgprValuC+44], v12, v15          // Non-Nan case: add lsb and the increment for rounding
v_cndmask_b32 v[vgprValuC+44], v12, v14, s[34:35]  // 
v_lshrrev_b32 v[vgprValuC+44], 16, v[vgprValuC+44] // convert C to bf16
v_cmp_u_f32 s[34:35], v[vgprValuC+45], v[vgprValuC+45] // check Nan
v_bfe_u32 v12, v[vgprValuC+45], 16, 1              // Non-Nan case: store lsb of bf16
v_add3_u32 v12, v[vgprValuC+45], v12, v15          // Non-Nan case: add lsb and the increment for rounding
v_cndmask_b32 v[vgprValuC+45], v12, v14, s[34:35]  // 
v_and_or_b32 v44, v[vgprValuC+45], v13, v[vgprValuC+44] // pack two bf16 to dword
v_cmp_u_f32 s[34:35], v[vgprValuC+46], v[vgprValuC+46] // check Nan
v_bfe_u32 v12, v[vgprValuC+46], 16, 1              // Non-Nan case: store lsb of bf16
v_add3_u32 v12, v[vgprValuC+46], v12, v15          // Non-Nan case: add lsb and the increment for rounding
v_cndmask_b32 v[vgprValuC+46], v12, v14, s[34:35]  // 
v_lshrrev_b32 v[vgprValuC+46], 16, v[vgprValuC+46] // convert C to bf16
v_cmp_u_f32 s[34:35], v[vgprValuC+47], v[vgprValuC+47] // check Nan
v_bfe_u32 v12, v[vgprValuC+47], 16, 1              // Non-Nan case: store lsb of bf16
v_add3_u32 v12, v[vgprValuC+47], v12, v15          // Non-Nan case: add lsb and the increment for rounding
v_cndmask_b32 v[vgprValuC+47], v12, v14, s[34:35]  // 
v_and_or_b32 v45, v[vgprValuC+47], v13, v[vgprValuC+46] // pack two bf16 to dword
_ds_store_b64 v7, v[44:45], offset:144             // storeRemap lw
	;; [unrolled: 21-line block ×12, first 2 shown]

/* Handle local read and global write */
s_waitcnt lgkmcnt(0)                               // wait for LDS write
s_barrier //wait all lds write finished

_ds_load_b64 v[16:17], v8, offset:0                // storeRemap lr
_ds_load_b64 v[18:19], v8, offset:520              // storeRemap lr
_ds_load_b64 v[20:21], v8, offset:1040             // storeRemap lr
_ds_load_b64 v[22:23], v8, offset:1560             // storeRemap lr
	;; [unrolled: 1-line block ×14, first 2 shown]

s_waitcnt lgkmcnt(15)                              // wait for LDS read
_v_add_u32 v11, v5, 0                              // coord1 += nColPerLoad
_v_add_u32 v10, v4, 0                              // coord0 += element index of load vector
_v_add_u32 v9, v6, 0                               // offset coord1 += nColPerLoad
v_cmp_lt_u32 s[34:35], v10, s[sgprSizeI]           // coord0 < size0
v_cmp_lt_u32 s[36:37], v11, s[sgprSizeJ]           // coord1 < size1
s_and_b64 s[36:37], s[34:35], s[36:37]             // in0 && in1
v_mul_lo_u32 v9, v9, s[sgprStrideD1J]              // coord1 element offset =  coord1 * StrideD
_v_add_lshl_u32 v9, v9, v10, 0x1                   // scale to BPE
v_cndmask_b32 v9, -1, v9, s[36:37]                 // clip if OOB. offset
_buffer_store_b64 v[16:17], v9, s[sgprSrdD:sgprSrdD+3], 0, offen, offset:0 // store D
s_waitcnt lgkmcnt(14)                              // wait for LDS read
_v_add_u32 v11, v5, 1                              // coord1 += nColPerLoad
_v_add_u32 v10, v4, 0                              // coord0 += element index of load vector
_v_add_u32 v9, v6, 1                               // offset coord1 += nColPerLoad
v_cmp_lt_u32 s[34:35], v10, s[sgprSizeI]           // coord0 < size0
v_cmp_lt_u32 s[36:37], v11, s[sgprSizeJ]           // coord1 < size1
s_and_b64 s[36:37], s[34:35], s[36:37]             // in0 && in1
v_mul_lo_u32 v9, v9, s[sgprStrideD1J]              // coord1 element offset =  coord1 * StrideD
_v_add_lshl_u32 v9, v9, v10, 0x1                   // scale to BPE
v_cndmask_b32 v9, -1, v9, s[36:37]                 // clip if OOB. offset
_buffer_store_b64 v[18:19], v9, s[sgprSrdD:sgprSrdD+3], 0, offen, offset:0 // store D
	;; [unrolled: 11-line block ×6, first 2 shown]
s_waitcnt lgkmcnt(9)                               // wait for LDS read
_v_add_u32 v11, v5, 6                              // coord1 += nColPerLoad
_v_add_u32 v10, v4, 0                              // coord0 += element index of load vector
_v_add_u32 v9, v6, 6                               // offset coord1 += nColPerLoad
v_cmp_lt_u32 s[34:35], v10, s[sgprSizeI]           // coord0 < size0
v_cmp_lt_u32 s[36:37], v11, s[sgprSizeJ]           // coord1 < size1
s_and_b64 s[36:37], s[34:35], s[36:37]             // in0 && in1
v_mul_lo_u32 v9, v9, s[sgprStrideD1J]              // coord1 element offset =  coord1 * StrideD
_v_add_lshl_u32 v9, v9, v10, 0x1                   // scale to BPE
v_cndmask_b32 v9, -1, v9, s[36:37]                 // clip if OOB. offset
_buffer_store_b64 v[28:29], v9, s[sgprSrdD:sgprSrdD+3], 0, offen, offset:0 // store D
s_waitcnt lgkmcnt(8)                               // wait for LDS read
_v_add_u32 v11, v5, 7                              // coord1 += nColPerLoad
_v_add_u32 v10, v4, 0                              // coord0 += element index of load vector
_v_add_u32 v9, v6, 7                               // offset coord1 += nColPerLoad
v_cmp_lt_u32 s[34:35], v10, s[sgprSizeI]           // coord0 < size0
v_cmp_lt_u32 s[36:37], v11, s[sgprSizeJ]           // coord1 < size1
s_and_b64 s[36:37], s[34:35], s[36:37]             // in0 && in1
v_mul_lo_u32 v9, v9, s[sgprStrideD1J]              // coord1 element offset =  coord1 * StrideD
_v_add_lshl_u32 v9, v9, v10, 0x1                   // scale to BPE
v_cndmask_b32 v9, -1, v9, s[36:37]                 // clip if OOB. offset
_buffer_store_b64 v[30:31], v9, s[sgprSrdD:sgprSrdD+3], 0, offen, offset:0 // store D
	;; [unrolled: 11-line block ×4, first 2 shown]
s_waitcnt lgkmcnt(5)                               // wait for LDS read
_v_add_u32 v11, v5, 10                             // coord1 += nColPerLoad
_v_add_u32 v10, v4, 0                              // coord0 += element index of load vector
_v_add_u32 v9, v6, 10                              // offset coord1 += nColPerLoad
v_cmp_lt_u32 s[34:35], v10, s[sgprSizeI]           // coord0 < size0
v_cmp_lt_u32 s[36:37], v11, s[sgprSizeJ]           // coord1 < size1
s_and_b64 s[36:37], s[34:35], s[36:37]             // in0 && in1
v_mul_lo_u32 v9, v9, s[sgprStrideD1J]              // coord1 element offset =  coord1 * StrideD
_v_add_lshl_u32 v9, v9, v10, 0x1                   // scale to BPE
v_cndmask_b32 v9, -1, v9, s[36:37]                 // clip if OOB. offset
_buffer_store_b64 v[36:37], v9, s[sgprSrdD:sgprSrdD+3], 0, offen, offset:0 // store D
s_waitcnt lgkmcnt(4)                               // wait for LDS read
_v_add_u32 v11, v5, 11                             // coord1 += nColPerLoad
_v_add_u32 v10, v4, 0                              // coord0 += element index of load vector
_v_add_u32 v9, v6, 11                              // offset coord1 += nColPerLoad
v_cmp_lt_u32 s[34:35], v10, s[sgprSizeI]           // coord0 < size0
v_cmp_lt_u32 s[36:37], v11, s[sgprSizeJ]           // coord1 < size1
s_and_b64 s[36:37], s[34:35], s[36:37]             // in0 && in1
v_mul_lo_u32 v9, v9, s[sgprStrideD1J]              // coord1 element offset =  coord1 * StrideD
_v_add_lshl_u32 v9, v9, v10, 0x1                   // scale to BPE
v_cndmask_b32 v9, -1, v9, s[36:37]                 // clip if OOB. offset
_buffer_store_b64 v[38:39], v9, s[sgprSrdD:sgprSrdD+3], 0, offen, offset:0 // store D
	;; [unrolled: 11-line block ×6, first 2 shown]

s_barrier //wait all lds read finished
s_nop 0                                            // 1 wait state required when next inst writes vgprs held by previous dwordx4 store inst
s_branch label_GW_End_44                           // jump to end
GW_Beta_45:
s_and_b32 s34, 255, s[sgprSizeI]                   // s34 = s[sgprSizeI] % 256
s_add_u32 s35, -0x1, s[sgprNumWorkGroups0]         // 
s_cmp_ge_u32 s[sgprWorkGroup0], s35                // wg0 >= nwg0-1 ?
s_cselect_b32 s34, s34, 0                          // set rMT0
s_cmpk_gt_u32 s34, 0x0                             // rMT0 > 0
s_cbranch_scc1 GW_B1_E1_43                         // jump if edges required
s_and_b32 s34, 63, s[sgprSizeJ]                    // s34 = s[sgprSizeJ] % 64
s_add_u32 s35, -0x1, s[sgprNumWorkGroups1]         // 
s_cmp_ge_u32 s[sgprWorkGroup1], s35                // wg1 >= nwg1-1
s_cselect_b32 s34, s34, 0                          // set rMT1
s_cmpk_gt_u32 s34, 0x0                             // rMT1 > 0
s_cbranch_scc1 GW_B1_E1_43                         // jump if edges required
GW_B1_E0_40:

/* edge=0, allocate 2 sgpr. perBatchTmpS=2 perBatchMaskS=0 perElementMaskS=0 elementsPerBatch=16 */
/* optSingleColVgpr=1 optSharedColVgpr=0 optSGPRUsage=BufferLoad_Mask optSrdIncForRow=1 */

/******************************************/
/* Global Write Alpha Beta Batch #0 (d1,d0,vc1,vc0) = */
/*    (0,0,0,0:vw4); (0,1,0,0:vw4); (0,2,0,0:vw4); (0,3,0,0:vw4); (0,4,0,0:vw4); (0,5,0,0:vw4); (0,6,0,0:vw4); (0,7,0,0:vw4); (0,8,0,0:vw4); (0,9,0,0:vw4); (0,10,0,0:vw4); (0,11,0,0:vw4); (0,12,0,0:vw4); (0,13,0,0:vw4); (0,14,0,0:vw4); (0,15,0,0:vw4) */
/******************************************/

/* calc coords, apply mask, and issue loads (if necessary) */
/* (d1,vc1,d0,vc0)=(0,0,0,0) */
_v_add_lshl_u32 v16, v2, v0, 0x1                   // optSingleColVgpr scaleToBpe: sharedAddrVgpr <- cinRowPtr + coord0, scaled by BPE. BSHERE:coord0=0, coord0Vgpr=0
_buffer_load_b64 v[18:19], v16, s[sgprSrdC:sgprSrdC+3], 0, offen offset:0 // load C for beta calc
/* (d1,vc1,d0,vc0)=(0,0,1,0) */
_buffer_load_b64 v[24:25], v16, s[sgprSrdC:sgprSrdC+3], 0, offen offset:16 // load C for beta calc
/* (d1,vc1,d0,vc0)=(0,0,2,0) */
	;; [unrolled: 2-line block ×15, first 2 shown]
_buffer_load_b64 v[108:109], v16, s[sgprSrdC:sgprSrdC+3], 0, offen offset:432 // load C for beta calc
_v_add_lshl_u32 v9, v3, v0, 0x1                    // optSingleColVgpr scaleToBpe: sharedAddrVgpr <- cinRowPtr + coord0, scaled by BPE. BSHERE:coord0=0, coord0Vgpr=0
v_accvgpr_read_b32 v[vgprValuC+20], acc0 // copy acc to vreg[0]
v_accvgpr_read_b32 v[vgprValuC+21], acc1 // copy acc to vreg[1]
v_accvgpr_read_b32 v[vgprValuC+22], acc2 // copy acc to vreg[2]
v_accvgpr_read_b32 v[vgprValuC+23], acc3 // copy acc to vreg[3]
v_accvgpr_read_b32 v[vgprValuC+28], acc4 // copy acc to vreg[4]
v_accvgpr_read_b32 v[vgprValuC+29], acc5 // copy acc to vreg[5]
v_accvgpr_read_b32 v[vgprValuC+30], acc6 // copy acc to vreg[6]
v_accvgpr_read_b32 v[vgprValuC+31], acc7 // copy acc to vreg[7]
v_accvgpr_read_b32 v[vgprValuC+32], acc8 // copy acc to vreg[8]
v_accvgpr_read_b32 v[vgprValuC+33], acc9 // copy acc to vreg[9]
v_accvgpr_read_b32 v[vgprValuC+34], acc10 // copy acc to vreg[10]
v_accvgpr_read_b32 v[vgprValuC+35], acc11 // copy acc to vreg[11]
v_accvgpr_read_b32 v[vgprValuC+40], acc12 // copy acc to vreg[12]
v_accvgpr_read_b32 v[vgprValuC+41], acc13 // copy acc to vreg[13]
v_accvgpr_read_b32 v[vgprValuC+42], acc14 // copy acc to vreg[14]
v_accvgpr_read_b32 v[vgprValuC+43], acc15 // copy acc to vreg[15]
v_accvgpr_read_b32 v[vgprValuC+44], acc16 // copy acc to vreg[16]
v_accvgpr_read_b32 v[vgprValuC+45], acc17 // copy acc to vreg[17]
v_accvgpr_read_b32 v[vgprValuC+46], acc18 // copy acc to vreg[18]
v_accvgpr_read_b32 v[vgprValuC+47], acc19 // copy acc to vreg[19]
v_accvgpr_read_b32 v[vgprValuC+52], acc20 // copy acc to vreg[20]
v_accvgpr_read_b32 v[vgprValuC+53], acc21 // copy acc to vreg[21]
v_accvgpr_read_b32 v[vgprValuC+54], acc22 // copy acc to vreg[22]
v_accvgpr_read_b32 v[vgprValuC+55], acc23 // copy acc to vreg[23]
v_accvgpr_read_b32 v[vgprValuC+56], acc24 // copy acc to vreg[24]
v_accvgpr_read_b32 v[vgprValuC+57], acc25 // copy acc to vreg[25]
v_accvgpr_read_b32 v[vgprValuC+58], acc26 // copy acc to vreg[26]
v_accvgpr_read_b32 v[vgprValuC+59], acc27 // copy acc to vreg[27]
v_accvgpr_read_b32 v[vgprValuC+64], acc28 // copy acc to vreg[28]
v_accvgpr_read_b32 v[vgprValuC+65], acc29 // copy acc to vreg[29]
v_accvgpr_read_b32 v[vgprValuC+66], acc30 // copy acc to vreg[30]
v_accvgpr_read_b32 v[vgprValuC+67], acc31 // copy acc to vreg[31]
v_accvgpr_read_b32 v[vgprValuC+68], acc32 // copy acc to vreg[32]
v_accvgpr_read_b32 v[vgprValuC+69], acc33 // copy acc to vreg[33]
v_accvgpr_read_b32 v[vgprValuC+70], acc34 // copy acc to vreg[34]
v_accvgpr_read_b32 v[vgprValuC+71], acc35 // copy acc to vreg[35]
v_accvgpr_read_b32 v[vgprValuC+76], acc36 // copy acc to vreg[36]
v_accvgpr_read_b32 v[vgprValuC+77], acc37 // copy acc to vreg[37]
v_accvgpr_read_b32 v[vgprValuC+78], acc38 // copy acc to vreg[38]
v_accvgpr_read_b32 v[vgprValuC+79], acc39 // copy acc to vreg[39]
v_accvgpr_read_b32 v[vgprValuC+80], acc40 // copy acc to vreg[40]
v_accvgpr_read_b32 v[vgprValuC+81], acc41 // copy acc to vreg[41]
v_accvgpr_read_b32 v[vgprValuC+82], acc42 // copy acc to vreg[42]
v_accvgpr_read_b32 v[vgprValuC+83], acc43 // copy acc to vreg[43]
v_accvgpr_read_b32 v[vgprValuC+88], acc44 // copy acc to vreg[44]
v_accvgpr_read_b32 v[vgprValuC+89], acc45 // copy acc to vreg[45]
v_accvgpr_read_b32 v[vgprValuC+90], acc46 // copy acc to vreg[46]
v_accvgpr_read_b32 v[vgprValuC+91], acc47 // copy acc to vreg[47]
v_accvgpr_read_b32 v[vgprValuC+92], acc48 // copy acc to vreg[48]
v_accvgpr_read_b32 v[vgprValuC+93], acc49 // copy acc to vreg[49]
v_accvgpr_read_b32 v[vgprValuC+94], acc50 // copy acc to vreg[50]
v_accvgpr_read_b32 v[vgprValuC+95], acc51 // copy acc to vreg[51]
v_accvgpr_read_b32 v[vgprValuC+100], acc52 // copy acc to vreg[52]
v_accvgpr_read_b32 v[vgprValuC+101], acc53 // copy acc to vreg[53]
v_accvgpr_read_b32 v[vgprValuC+102], acc54 // copy acc to vreg[54]
v_accvgpr_read_b32 v[vgprValuC+103], acc55 // copy acc to vreg[55]
v_accvgpr_read_b32 v[vgprValuC+104], acc56 // copy acc to vreg[56]
v_accvgpr_read_b32 v[vgprValuC+105], acc57 // copy acc to vreg[57]
v_accvgpr_read_b32 v[vgprValuC+106], acc58 // copy acc to vreg[58]
v_accvgpr_read_b32 v[vgprValuC+107], acc59 // copy acc to vreg[59]
v_accvgpr_read_b32 v[vgprValuC+112], acc60 // copy acc to vreg[60]
v_accvgpr_read_b32 v[vgprValuC+113], acc61 // copy acc to vreg[61]
v_accvgpr_read_b32 v[vgprValuC+114], acc62 // copy acc to vreg[62]
v_accvgpr_read_b32 v[vgprValuC+115], acc63 // copy acc to vreg[63]
s_nop 1                                            // 2 wait states required before reading vgpr

/* rC *= alpha batchElements=[(0, 0, 0, 0), (0, 1, 0, 0), (0, 2, 0, 0), (0, 3, 0, 0), (0, 4, 0, 0), (0, 5, 0, 0), (0, 6, 0, 0), (0, 7, 0, 0), (0, 8, 0, 0), (0, 9, 0, 0), (0, 10, 0, 0), (0, 11, 0, 0), (0, 12, 0, 0), (0, 13, 0, 0), (0, 14, 0, 0), (0, 15, 0, 0)] */
v_mul_f32 v[vgprValuC+20], s[sgprAlpha], v[vgprValuC+20] // *= alpha
v_mul_f32 v[vgprValuC+21], s[sgprAlpha], v[vgprValuC+21] // *= alpha
	;; [unrolled: 1-line block ×64, first 2 shown]

/* apply mask, calc new C and issue writes */
v_mov_b32 v13, 0xffff0000                          // mask for pack two bfloat16 element to 32bit
v_mov_b32 v14, 0x7fff0000                          // fp32 Nan
v_mov_b32 v15, 0x7fff                              // rounding bias for bfloat16

s_waitcnt vmcnt(15)                                // wait C (interleaved) 15 = 16 - 0 + 0 - 1
v_lshlrev_b32 v10, 16, v18                         // convert bf16 to fp32
_v_mac_f32 v[vgprValuC+20], v10, s[sgprBeta]       // finalSum = sum*alpha + C*beta
v_and_b32 v10, v18, v13                            // convert bf16 to fp32
_v_mac_f32 v[vgprValuC+21], v10, s[sgprBeta]       // finalSum = sum*alpha + C*beta
v_lshlrev_b32 v10, 16, v19                         // convert bf16 to fp32
_v_mac_f32 v[vgprValuC+22], v10, s[sgprBeta]       // finalSum = sum*alpha + C*beta
v_and_b32 v10, v19, v13                            // convert bf16 to fp32
_v_mac_f32 v[vgprValuC+23], v10, s[sgprBeta]       // finalSum = sum*alpha + C*beta
v_cmp_u_f32 s[34:35], v[vgprValuC+20], v[vgprValuC+20] // check Nan
v_bfe_u32 v12, v[vgprValuC+20], 16, 1              // Non-Nan case: store lsb of bf16
v_add3_u32 v12, v[vgprValuC+20], v12, v15          // Non-Nan case: add lsb and the increment for rounding
v_cndmask_b32 v[vgprValuC+20], v12, v14, s[34:35]  // 
v_lshrrev_b32 v[vgprValuC+20], 16, v[vgprValuC+20] // convert C to bf16
v_cmp_u_f32 s[34:35], v[vgprValuC+21], v[vgprValuC+21] // check Nan
v_bfe_u32 v12, v[vgprValuC+21], 16, 1              // Non-Nan case: store lsb of bf16
v_add3_u32 v12, v[vgprValuC+21], v12, v15          // Non-Nan case: add lsb and the increment for rounding
v_cndmask_b32 v[vgprValuC+21], v12, v14, s[34:35]  // 
v_and_or_b32 v20, v[vgprValuC+21], v13, v[vgprValuC+20] // pack two bf16 to dword
v_cmp_u_f32 s[34:35], v[vgprValuC+22], v[vgprValuC+22] // check Nan
v_bfe_u32 v12, v[vgprValuC+22], 16, 1              // Non-Nan case: store lsb of bf16
v_add3_u32 v12, v[vgprValuC+22], v12, v15          // Non-Nan case: add lsb and the increment for rounding
v_cndmask_b32 v[vgprValuC+22], v12, v14, s[34:35]  // 
v_lshrrev_b32 v[vgprValuC+22], 16, v[vgprValuC+22] // convert C to bf16
v_cmp_u_f32 s[34:35], v[vgprValuC+23], v[vgprValuC+23] // check Nan
v_bfe_u32 v12, v[vgprValuC+23], 16, 1              // Non-Nan case: store lsb of bf16
v_add3_u32 v12, v[vgprValuC+23], v12, v15          // Non-Nan case: add lsb and the increment for rounding
v_cndmask_b32 v[vgprValuC+23], v12, v14, s[34:35]  // 
v_and_or_b32 v21, v[vgprValuC+23], v13, v[vgprValuC+22] // pack two bf16 to dword
_ds_store_b64 v7, v[20:21], offset:0               // storeRemap lw

s_waitcnt vmcnt(14)                                // wait C (interleaved) 14 = 16 - 1 + 0 - 1
v_lshlrev_b32 v10, 16, v24                         // convert bf16 to fp32
_v_mac_f32 v[vgprValuC+28], v10, s[sgprBeta]       // finalSum = sum*alpha + C*beta
v_and_b32 v10, v24, v13                            // convert bf16 to fp32
_v_mac_f32 v[vgprValuC+29], v10, s[sgprBeta]       // finalSum = sum*alpha + C*beta
v_lshlrev_b32 v10, 16, v25                         // convert bf16 to fp32
_v_mac_f32 v[vgprValuC+30], v10, s[sgprBeta]       // finalSum = sum*alpha + C*beta
v_and_b32 v10, v25, v13                            // convert bf16 to fp32
_v_mac_f32 v[vgprValuC+31], v10, s[sgprBeta]       // finalSum = sum*alpha + C*beta
v_cmp_u_f32 s[34:35], v[vgprValuC+28], v[vgprValuC+28] // check Nan
v_bfe_u32 v12, v[vgprValuC+28], 16, 1              // Non-Nan case: store lsb of bf16
v_add3_u32 v12, v[vgprValuC+28], v12, v15          // Non-Nan case: add lsb and the increment for rounding
v_cndmask_b32 v[vgprValuC+28], v12, v14, s[34:35]  // 
v_lshrrev_b32 v[vgprValuC+28], 16, v[vgprValuC+28] // convert C to bf16
v_cmp_u_f32 s[34:35], v[vgprValuC+29], v[vgprValuC+29] // check Nan
v_bfe_u32 v12, v[vgprValuC+29], 16, 1              // Non-Nan case: store lsb of bf16
v_add3_u32 v12, v[vgprValuC+29], v12, v15          // Non-Nan case: add lsb and the increment for rounding
v_cndmask_b32 v[vgprValuC+29], v12, v14, s[34:35]  // 
v_and_or_b32 v28, v[vgprValuC+29], v13, v[vgprValuC+28] // pack two bf16 to dword
v_cmp_u_f32 s[34:35], v[vgprValuC+30], v[vgprValuC+30] // check Nan
v_bfe_u32 v12, v[vgprValuC+30], 16, 1              // Non-Nan case: store lsb of bf16
v_add3_u32 v12, v[vgprValuC+30], v12, v15          // Non-Nan case: add lsb and the increment for rounding
v_cndmask_b32 v[vgprValuC+30], v12, v14, s[34:35]  // 
v_lshrrev_b32 v[vgprValuC+30], 16, v[vgprValuC+30] // convert C to bf16
v_cmp_u_f32 s[34:35], v[vgprValuC+31], v[vgprValuC+31] // check Nan
v_bfe_u32 v12, v[vgprValuC+31], 16, 1              // Non-Nan case: store lsb of bf16
v_add3_u32 v12, v[vgprValuC+31], v12, v15          // Non-Nan case: add lsb and the increment for rounding
v_cndmask_b32 v[vgprValuC+31], v12, v14, s[34:35]  // 
v_and_or_b32 v29, v[vgprValuC+31], v13, v[vgprValuC+30] // pack two bf16 to dword
_ds_store_b64 v7, v[28:29], offset:16              // storeRemap lw

s_waitcnt vmcnt(13)                                // wait C (interleaved) 13 = 16 - 2 + 0 - 1
v_lshlrev_b32 v10, 16, v26                         // convert bf16 to fp32
_v_mac_f32 v[vgprValuC+32], v10, s[sgprBeta]       // finalSum = sum*alpha + C*beta
v_and_b32 v10, v26, v13                            // convert bf16 to fp32
_v_mac_f32 v[vgprValuC+33], v10, s[sgprBeta]       // finalSum = sum*alpha + C*beta
v_lshlrev_b32 v10, 16, v27                         // convert bf16 to fp32
_v_mac_f32 v[vgprValuC+34], v10, s[sgprBeta]       // finalSum = sum*alpha + C*beta
v_and_b32 v10, v27, v13                            // convert bf16 to fp32
_v_mac_f32 v[vgprValuC+35], v10, s[sgprBeta]       // finalSum = sum*alpha + C*beta
v_cmp_u_f32 s[34:35], v[vgprValuC+32], v[vgprValuC+32] // check Nan
v_bfe_u32 v12, v[vgprValuC+32], 16, 1              // Non-Nan case: store lsb of bf16
v_add3_u32 v12, v[vgprValuC+32], v12, v15          // Non-Nan case: add lsb and the increment for rounding
v_cndmask_b32 v[vgprValuC+32], v12, v14, s[34:35]  // 
v_lshrrev_b32 v[vgprValuC+32], 16, v[vgprValuC+32] // convert C to bf16
v_cmp_u_f32 s[34:35], v[vgprValuC+33], v[vgprValuC+33] // check Nan
v_bfe_u32 v12, v[vgprValuC+33], 16, 1              // Non-Nan case: store lsb of bf16
v_add3_u32 v12, v[vgprValuC+33], v12, v15          // Non-Nan case: add lsb and the increment for rounding
v_cndmask_b32 v[vgprValuC+33], v12, v14, s[34:35]  // 
v_and_or_b32 v32, v[vgprValuC+33], v13, v[vgprValuC+32] // pack two bf16 to dword
v_cmp_u_f32 s[34:35], v[vgprValuC+34], v[vgprValuC+34] // check Nan
v_bfe_u32 v12, v[vgprValuC+34], 16, 1              // Non-Nan case: store lsb of bf16
v_add3_u32 v12, v[vgprValuC+34], v12, v15          // Non-Nan case: add lsb and the increment for rounding
v_cndmask_b32 v[vgprValuC+34], v12, v14, s[34:35]  // 
v_lshrrev_b32 v[vgprValuC+34], 16, v[vgprValuC+34] // convert C to bf16
v_cmp_u_f32 s[34:35], v[vgprValuC+35], v[vgprValuC+35] // check Nan
v_bfe_u32 v12, v[vgprValuC+35], 16, 1              // Non-Nan case: store lsb of bf16
v_add3_u32 v12, v[vgprValuC+35], v12, v15          // Non-Nan case: add lsb and the increment for rounding
v_cndmask_b32 v[vgprValuC+35], v12, v14, s[34:35]  // 
v_and_or_b32 v33, v[vgprValuC+35], v13, v[vgprValuC+34] // pack two bf16 to dword
_ds_store_b64 v7, v[32:33], offset:32              // storeRemap lw
	;; [unrolled: 31-line block ×3, first 2 shown]

s_waitcnt vmcnt(11)                                // wait C (interleaved) 11 = 16 - 4 + 0 - 1
v_lshlrev_b32 v10, 16, v38                         // convert bf16 to fp32
_v_mac_f32 v[vgprValuC+44], v10, s[sgprBeta]       // finalSum = sum*alpha + C*beta
v_and_b32 v10, v38, v13                            // convert bf16 to fp32
_v_mac_f32 v[vgprValuC+45], v10, s[sgprBeta]       // finalSum = sum*alpha + C*beta
v_lshlrev_b32 v10, 16, v39                         // convert bf16 to fp32
_v_mac_f32 v[vgprValuC+46], v10, s[sgprBeta]       // finalSum = sum*alpha + C*beta
v_and_b32 v10, v39, v13                            // convert bf16 to fp32
_v_mac_f32 v[vgprValuC+47], v10, s[sgprBeta]       // finalSum = sum*alpha + C*beta
v_cmp_u_f32 s[34:35], v[vgprValuC+44], v[vgprValuC+44] // check Nan
v_bfe_u32 v12, v[vgprValuC+44], 16, 1              // Non-Nan case: store lsb of bf16
v_add3_u32 v12, v[vgprValuC+44], v12, v15          // Non-Nan case: add lsb and the increment for rounding
v_cndmask_b32 v[vgprValuC+44], v12, v14, s[34:35]  // 
v_lshrrev_b32 v[vgprValuC+44], 16, v[vgprValuC+44] // convert C to bf16
v_cmp_u_f32 s[34:35], v[vgprValuC+45], v[vgprValuC+45] // check Nan
v_bfe_u32 v12, v[vgprValuC+45], 16, 1              // Non-Nan case: store lsb of bf16
v_add3_u32 v12, v[vgprValuC+45], v12, v15          // Non-Nan case: add lsb and the increment for rounding
v_cndmask_b32 v[vgprValuC+45], v12, v14, s[34:35]  // 
v_and_or_b32 v44, v[vgprValuC+45], v13, v[vgprValuC+44] // pack two bf16 to dword
v_cmp_u_f32 s[34:35], v[vgprValuC+46], v[vgprValuC+46] // check Nan
v_bfe_u32 v12, v[vgprValuC+46], 16, 1              // Non-Nan case: store lsb of bf16
v_add3_u32 v12, v[vgprValuC+46], v12, v15          // Non-Nan case: add lsb and the increment for rounding
v_cndmask_b32 v[vgprValuC+46], v12, v14, s[34:35]  // 
v_lshrrev_b32 v[vgprValuC+46], 16, v[vgprValuC+46] // convert C to bf16
v_cmp_u_f32 s[34:35], v[vgprValuC+47], v[vgprValuC+47] // check Nan
v_bfe_u32 v12, v[vgprValuC+47], 16, 1              // Non-Nan case: store lsb of bf16
v_add3_u32 v12, v[vgprValuC+47], v12, v15          // Non-Nan case: add lsb and the increment for rounding
v_cndmask_b32 v[vgprValuC+47], v12, v14, s[34:35]  // 
v_and_or_b32 v45, v[vgprValuC+47], v13, v[vgprValuC+46] // pack two bf16 to dword
_ds_store_b64 v7, v[44:45], offset:128             // storeRemap lw

s_waitcnt vmcnt(10)                                // wait C (interleaved) 10 = 16 - 5 + 0 - 1
v_lshlrev_b32 v10, 16, v48                         // convert bf16 to fp32
_v_mac_f32 v[vgprValuC+52], v10, s[sgprBeta]       // finalSum = sum*alpha + C*beta
v_and_b32 v10, v48, v13                            // convert bf16 to fp32
_v_mac_f32 v[vgprValuC+53], v10, s[sgprBeta]       // finalSum = sum*alpha + C*beta
v_lshlrev_b32 v10, 16, v49                         // convert bf16 to fp32
_v_mac_f32 v[vgprValuC+54], v10, s[sgprBeta]       // finalSum = sum*alpha + C*beta
v_and_b32 v10, v49, v13                            // convert bf16 to fp32
_v_mac_f32 v[vgprValuC+55], v10, s[sgprBeta]       // finalSum = sum*alpha + C*beta
v_cmp_u_f32 s[34:35], v[vgprValuC+52], v[vgprValuC+52] // check Nan
v_bfe_u32 v12, v[vgprValuC+52], 16, 1              // Non-Nan case: store lsb of bf16
v_add3_u32 v12, v[vgprValuC+52], v12, v15          // Non-Nan case: add lsb and the increment for rounding
v_cndmask_b32 v[vgprValuC+52], v12, v14, s[34:35]  // 
v_lshrrev_b32 v[vgprValuC+52], 16, v[vgprValuC+52] // convert C to bf16
v_cmp_u_f32 s[34:35], v[vgprValuC+53], v[vgprValuC+53] // check Nan
v_bfe_u32 v12, v[vgprValuC+53], 16, 1              // Non-Nan case: store lsb of bf16
v_add3_u32 v12, v[vgprValuC+53], v12, v15          // Non-Nan case: add lsb and the increment for rounding
v_cndmask_b32 v[vgprValuC+53], v12, v14, s[34:35]  // 
v_and_or_b32 v52, v[vgprValuC+53], v13, v[vgprValuC+52] // pack two bf16 to dword
v_cmp_u_f32 s[34:35], v[vgprValuC+54], v[vgprValuC+54] // check Nan
v_bfe_u32 v12, v[vgprValuC+54], 16, 1              // Non-Nan case: store lsb of bf16
v_add3_u32 v12, v[vgprValuC+54], v12, v15          // Non-Nan case: add lsb and the increment for rounding
v_cndmask_b32 v[vgprValuC+54], v12, v14, s[34:35]  // 
v_lshrrev_b32 v[vgprValuC+54], 16, v[vgprValuC+54] // convert C to bf16
v_cmp_u_f32 s[34:35], v[vgprValuC+55], v[vgprValuC+55] // check Nan
v_bfe_u32 v12, v[vgprValuC+55], 16, 1              // Non-Nan case: store lsb of bf16
v_add3_u32 v12, v[vgprValuC+55], v12, v15          // Non-Nan case: add lsb and the increment for rounding
v_cndmask_b32 v[vgprValuC+55], v12, v14, s[34:35]  // 
v_and_or_b32 v53, v[vgprValuC+55], v13, v[vgprValuC+54] // pack two bf16 to dword
_ds_store_b64 v7, v[52:53], offset:144             // storeRemap lw

s_waitcnt vmcnt(9)                                 // wait C (interleaved) 9 = 16 - 6 + 0 - 1
v_lshlrev_b32 v10, 16, v50                         // convert bf16 to fp32
_v_mac_f32 v[vgprValuC+56], v10, s[sgprBeta]       // finalSum = sum*alpha + C*beta
v_and_b32 v10, v50, v13                            // convert bf16 to fp32
_v_mac_f32 v[vgprValuC+57], v10, s[sgprBeta]       // finalSum = sum*alpha + C*beta
v_lshlrev_b32 v10, 16, v51                         // convert bf16 to fp32
_v_mac_f32 v[vgprValuC+58], v10, s[sgprBeta]       // finalSum = sum*alpha + C*beta
v_and_b32 v10, v51, v13                            // convert bf16 to fp32
_v_mac_f32 v[vgprValuC+59], v10, s[sgprBeta]       // finalSum = sum*alpha + C*beta
v_cmp_u_f32 s[34:35], v[vgprValuC+56], v[vgprValuC+56] // check Nan
v_bfe_u32 v12, v[vgprValuC+56], 16, 1              // Non-Nan case: store lsb of bf16
v_add3_u32 v12, v[vgprValuC+56], v12, v15          // Non-Nan case: add lsb and the increment for rounding
v_cndmask_b32 v[vgprValuC+56], v12, v14, s[34:35]  // 
v_lshrrev_b32 v[vgprValuC+56], 16, v[vgprValuC+56] // convert C to bf16
v_cmp_u_f32 s[34:35], v[vgprValuC+57], v[vgprValuC+57] // check Nan
v_bfe_u32 v12, v[vgprValuC+57], 16, 1              // Non-Nan case: store lsb of bf16
v_add3_u32 v12, v[vgprValuC+57], v12, v15          // Non-Nan case: add lsb and the increment for rounding
v_cndmask_b32 v[vgprValuC+57], v12, v14, s[34:35]  // 
v_and_or_b32 v56, v[vgprValuC+57], v13, v[vgprValuC+56] // pack two bf16 to dword
v_cmp_u_f32 s[34:35], v[vgprValuC+58], v[vgprValuC+58] // check Nan
v_bfe_u32 v12, v[vgprValuC+58], 16, 1              // Non-Nan case: store lsb of bf16
v_add3_u32 v12, v[vgprValuC+58], v12, v15          // Non-Nan case: add lsb and the increment for rounding
v_cndmask_b32 v[vgprValuC+58], v12, v14, s[34:35]  // 
v_lshrrev_b32 v[vgprValuC+58], 16, v[vgprValuC+58] // convert C to bf16
v_cmp_u_f32 s[34:35], v[vgprValuC+59], v[vgprValuC+59] // check Nan
v_bfe_u32 v12, v[vgprValuC+59], 16, 1              // Non-Nan case: store lsb of bf16
v_add3_u32 v12, v[vgprValuC+59], v12, v15          // Non-Nan case: add lsb and the increment for rounding
v_cndmask_b32 v[vgprValuC+59], v12, v14, s[34:35]  // 
v_and_or_b32 v57, v[vgprValuC+59], v13, v[vgprValuC+58] // pack two bf16 to dword
_ds_store_b64 v7, v[56:57], offset:160             // storeRemap lw

s_waitcnt vmcnt(8)                                 // wait C (interleaved) 8 = 16 - 7 + 0 - 1
	;; [unrolled: 31-line block ×8, first 2 shown]
v_lshlrev_b32 v10, 16, v96                         // convert bf16 to fp32
_v_mac_f32 v[vgprValuC+100], v10, s[sgprBeta]      // finalSum = sum*alpha + C*beta
v_and_b32 v10, v96, v13                            // convert bf16 to fp32
_v_mac_f32 v[vgprValuC+101], v10, s[sgprBeta]      // finalSum = sum*alpha + C*beta
v_lshlrev_b32 v10, 16, v97                         // convert bf16 to fp32
_v_mac_f32 v[vgprValuC+102], v10, s[sgprBeta]      // finalSum = sum*alpha + C*beta
v_and_b32 v10, v97, v13                            // convert bf16 to fp32
_v_mac_f32 v[vgprValuC+103], v10, s[sgprBeta]      // finalSum = sum*alpha + C*beta
v_cmp_u_f32 s[34:35], v[vgprValuC+100], v[vgprValuC+100] // check Nan
v_bfe_u32 v12, v[vgprValuC+100], 16, 1             // Non-Nan case: store lsb of bf16
v_add3_u32 v12, v[vgprValuC+100], v12, v15         // Non-Nan case: add lsb and the increment for rounding
v_cndmask_b32 v[vgprValuC+100], v12, v14, s[34:35] // 
v_lshrrev_b32 v[vgprValuC+100], 16, v[vgprValuC+100] // convert C to bf16
v_cmp_u_f32 s[34:35], v[vgprValuC+101], v[vgprValuC+101] // check Nan
v_bfe_u32 v12, v[vgprValuC+101], 16, 1             // Non-Nan case: store lsb of bf16
v_add3_u32 v12, v[vgprValuC+101], v12, v15         // Non-Nan case: add lsb and the increment for rounding
v_cndmask_b32 v[vgprValuC+101], v12, v14, s[34:35] // 
v_and_or_b32 v100, v[vgprValuC+101], v13, v[vgprValuC+100] // pack two bf16 to dword
v_cmp_u_f32 s[34:35], v[vgprValuC+102], v[vgprValuC+102] // check Nan
v_bfe_u32 v12, v[vgprValuC+102], 16, 1             // Non-Nan case: store lsb of bf16
v_add3_u32 v12, v[vgprValuC+102], v12, v15         // Non-Nan case: add lsb and the increment for rounding
v_cndmask_b32 v[vgprValuC+102], v12, v14, s[34:35] // 
v_lshrrev_b32 v[vgprValuC+102], 16, v[vgprValuC+102] // convert C to bf16
v_cmp_u_f32 s[34:35], v[vgprValuC+103], v[vgprValuC+103] // check Nan
v_bfe_u32 v12, v[vgprValuC+103], 16, 1             // Non-Nan case: store lsb of bf16
v_add3_u32 v12, v[vgprValuC+103], v12, v15         // Non-Nan case: add lsb and the increment for rounding
v_cndmask_b32 v[vgprValuC+103], v12, v14, s[34:35] // 
v_and_or_b32 v101, v[vgprValuC+103], v13, v[vgprValuC+102] // pack two bf16 to dword
_ds_store_b64 v7, v[100:101], offset:400           // storeRemap lw

s_waitcnt vmcnt(1)                                 // wait C (interleaved) 1 = 16 - 14 + 0 - 1
v_lshlrev_b32 v10, 16, v98                         // convert bf16 to fp32
_v_mac_f32 v[vgprValuC+104], v10, s[sgprBeta]      // finalSum = sum*alpha + C*beta
v_and_b32 v10, v98, v13                            // convert bf16 to fp32
_v_mac_f32 v[vgprValuC+105], v10, s[sgprBeta]      // finalSum = sum*alpha + C*beta
v_lshlrev_b32 v10, 16, v99                         // convert bf16 to fp32
_v_mac_f32 v[vgprValuC+106], v10, s[sgprBeta]      // finalSum = sum*alpha + C*beta
v_and_b32 v10, v99, v13                            // convert bf16 to fp32
_v_mac_f32 v[vgprValuC+107], v10, s[sgprBeta]      // finalSum = sum*alpha + C*beta
v_cmp_u_f32 s[34:35], v[vgprValuC+104], v[vgprValuC+104] // check Nan
v_bfe_u32 v12, v[vgprValuC+104], 16, 1             // Non-Nan case: store lsb of bf16
v_add3_u32 v12, v[vgprValuC+104], v12, v15         // Non-Nan case: add lsb and the increment for rounding
v_cndmask_b32 v[vgprValuC+104], v12, v14, s[34:35] // 
v_lshrrev_b32 v[vgprValuC+104], 16, v[vgprValuC+104] // convert C to bf16
v_cmp_u_f32 s[34:35], v[vgprValuC+105], v[vgprValuC+105] // check Nan
v_bfe_u32 v12, v[vgprValuC+105], 16, 1             // Non-Nan case: store lsb of bf16
v_add3_u32 v12, v[vgprValuC+105], v12, v15         // Non-Nan case: add lsb and the increment for rounding
v_cndmask_b32 v[vgprValuC+105], v12, v14, s[34:35] // 
v_and_or_b32 v104, v[vgprValuC+105], v13, v[vgprValuC+104] // pack two bf16 to dword
v_cmp_u_f32 s[34:35], v[vgprValuC+106], v[vgprValuC+106] // check Nan
v_bfe_u32 v12, v[vgprValuC+106], 16, 1             // Non-Nan case: store lsb of bf16
v_add3_u32 v12, v[vgprValuC+106], v12, v15         // Non-Nan case: add lsb and the increment for rounding
v_cndmask_b32 v[vgprValuC+106], v12, v14, s[34:35] // 
v_lshrrev_b32 v[vgprValuC+106], 16, v[vgprValuC+106] // convert C to bf16
v_cmp_u_f32 s[34:35], v[vgprValuC+107], v[vgprValuC+107] // check Nan
v_bfe_u32 v12, v[vgprValuC+107], 16, 1             // Non-Nan case: store lsb of bf16
v_add3_u32 v12, v[vgprValuC+107], v12, v15         // Non-Nan case: add lsb and the increment for rounding
v_cndmask_b32 v[vgprValuC+107], v12, v14, s[34:35] // 
v_and_or_b32 v105, v[vgprValuC+107], v13, v[vgprValuC+106] // pack two bf16 to dword
_ds_store_b64 v7, v[104:105], offset:416           // storeRemap lw

s_waitcnt vmcnt(0)                                 // wait C (interleaved) 0 = 16 - 15 + 0 - 1
v_lshlrev_b32 v10, 16, v108                        // convert bf16 to fp32
_v_mac_f32 v[vgprValuC+112], v10, s[sgprBeta]      // finalSum = sum*alpha + C*beta
v_and_b32 v10, v108, v13                           // convert bf16 to fp32
_v_mac_f32 v[vgprValuC+113], v10, s[sgprBeta]      // finalSum = sum*alpha + C*beta
v_lshlrev_b32 v10, 16, v109                        // convert bf16 to fp32
_v_mac_f32 v[vgprValuC+114], v10, s[sgprBeta]      // finalSum = sum*alpha + C*beta
v_and_b32 v10, v109, v13                           // convert bf16 to fp32
_v_mac_f32 v[vgprValuC+115], v10, s[sgprBeta]      // finalSum = sum*alpha + C*beta
v_cmp_u_f32 s[34:35], v[vgprValuC+112], v[vgprValuC+112] // check Nan
v_bfe_u32 v12, v[vgprValuC+112], 16, 1             // Non-Nan case: store lsb of bf16
v_add3_u32 v12, v[vgprValuC+112], v12, v15         // Non-Nan case: add lsb and the increment for rounding
v_cndmask_b32 v[vgprValuC+112], v12, v14, s[34:35] // 
v_lshrrev_b32 v[vgprValuC+112], 16, v[vgprValuC+112] // convert C to bf16
v_cmp_u_f32 s[34:35], v[vgprValuC+113], v[vgprValuC+113] // check Nan
v_bfe_u32 v12, v[vgprValuC+113], 16, 1             // Non-Nan case: store lsb of bf16
v_add3_u32 v12, v[vgprValuC+113], v12, v15         // Non-Nan case: add lsb and the increment for rounding
v_cndmask_b32 v[vgprValuC+113], v12, v14, s[34:35] // 
v_and_or_b32 v112, v[vgprValuC+113], v13, v[vgprValuC+112] // pack two bf16 to dword
v_cmp_u_f32 s[34:35], v[vgprValuC+114], v[vgprValuC+114] // check Nan
v_bfe_u32 v12, v[vgprValuC+114], 16, 1             // Non-Nan case: store lsb of bf16
v_add3_u32 v12, v[vgprValuC+114], v12, v15         // Non-Nan case: add lsb and the increment for rounding
v_cndmask_b32 v[vgprValuC+114], v12, v14, s[34:35] // 
v_lshrrev_b32 v[vgprValuC+114], 16, v[vgprValuC+114] // convert C to bf16
v_cmp_u_f32 s[34:35], v[vgprValuC+115], v[vgprValuC+115] // check Nan
v_bfe_u32 v12, v[vgprValuC+115], 16, 1             // Non-Nan case: store lsb of bf16
v_add3_u32 v12, v[vgprValuC+115], v12, v15         // Non-Nan case: add lsb and the increment for rounding
v_cndmask_b32 v[vgprValuC+115], v12, v14, s[34:35] // 
v_and_or_b32 v113, v[vgprValuC+115], v13, v[vgprValuC+114] // pack two bf16 to dword
_ds_store_b64 v7, v[112:113], offset:432           // storeRemap lw

/* Handle local read and global write */
s_waitcnt lgkmcnt(0)                               // wait for LDS write
s_barrier //wait all lds write finished

_ds_load_b64 v[18:19], v8, offset:0                // storeRemap lr
_ds_load_b64 v[20:21], v8, offset:520              // storeRemap lr
_ds_load_b64 v[22:23], v8, offset:1040             // storeRemap lr
_ds_load_b64 v[24:25], v8, offset:1560             // storeRemap lr
	;; [unrolled: 1-line block ×14, first 2 shown]

v_mov_b32 v17, v6                                  // coord1
v_mul_lo_u32 v17, v17, s[sgprStrideD1J]            // coord1 offset =  coord1 * StrideD
_v_add_lshl_u32 v17, v17, v4, 0x1                  // global write D address
s_waitcnt lgkmcnt(15)                              // wait for LDS read
_buffer_store_b64 v[18:19], v17, s[sgprSrdD:sgprSrdD+3], 0, offen, offset:0 // store D
_v_add_u32 v17, v6, 1                              // coord1 += nColPerLoad
v_mul_lo_u32 v17, v17, s[sgprStrideD1J]            // coord1 offset =  coord1 * StrideD
_v_add_lshl_u32 v17, v17, v4, 0x1                  // global write D address
s_waitcnt lgkmcnt(14)                              // wait for LDS read
_buffer_store_b64 v[20:21], v17, s[sgprSrdD:sgprSrdD+3], 0, offen, offset:0 // store D
_v_add_u32 v17, v6, 2                              // coord1 += nColPerLoad
v_mul_lo_u32 v17, v17, s[sgprStrideD1J]            // coord1 offset =  coord1 * StrideD
_v_add_lshl_u32 v17, v17, v4, 0x1                  // global write D address
s_waitcnt lgkmcnt(13)                              // wait for LDS read
_buffer_store_b64 v[22:23], v17, s[sgprSrdD:sgprSrdD+3], 0, offen, offset:0 // store D
_v_add_u32 v17, v6, 3                              // coord1 += nColPerLoad
v_mul_lo_u32 v17, v17, s[sgprStrideD1J]            // coord1 offset =  coord1 * StrideD
_v_add_lshl_u32 v17, v17, v4, 0x1                  // global write D address
s_waitcnt lgkmcnt(12)                              // wait for LDS read
_buffer_store_b64 v[24:25], v17, s[sgprSrdD:sgprSrdD+3], 0, offen, offset:0 // store D
_v_add_u32 v17, v6, 4                              // coord1 += nColPerLoad
v_mul_lo_u32 v17, v17, s[sgprStrideD1J]            // coord1 offset =  coord1 * StrideD
_v_add_lshl_u32 v17, v17, v4, 0x1                  // global write D address
s_waitcnt lgkmcnt(11)                              // wait for LDS read
_buffer_store_b64 v[26:27], v17, s[sgprSrdD:sgprSrdD+3], 0, offen, offset:0 // store D
_v_add_u32 v17, v6, 5                              // coord1 += nColPerLoad
v_mul_lo_u32 v17, v17, s[sgprStrideD1J]            // coord1 offset =  coord1 * StrideD
_v_add_lshl_u32 v17, v17, v4, 0x1                  // global write D address
s_waitcnt lgkmcnt(10)                              // wait for LDS read
_buffer_store_b64 v[28:29], v17, s[sgprSrdD:sgprSrdD+3], 0, offen, offset:0 // store D
_v_add_u32 v17, v6, 6                              // coord1 += nColPerLoad
v_mul_lo_u32 v17, v17, s[sgprStrideD1J]            // coord1 offset =  coord1 * StrideD
_v_add_lshl_u32 v17, v17, v4, 0x1                  // global write D address
s_waitcnt lgkmcnt(9)                               // wait for LDS read
_buffer_store_b64 v[30:31], v17, s[sgprSrdD:sgprSrdD+3], 0, offen, offset:0 // store D
_v_add_u32 v17, v6, 7                              // coord1 += nColPerLoad
v_mul_lo_u32 v17, v17, s[sgprStrideD1J]            // coord1 offset =  coord1 * StrideD
_v_add_lshl_u32 v17, v17, v4, 0x1                  // global write D address
s_waitcnt lgkmcnt(8)                               // wait for LDS read
_buffer_store_b64 v[32:33], v17, s[sgprSrdD:sgprSrdD+3], 0, offen, offset:0 // store D
_v_add_u32 v17, v6, 8                              // coord1 += nColPerLoad
	;; [unrolled: 5-line block ×3, first 2 shown]
v_mul_lo_u32 v17, v17, s[sgprStrideD1J]            // coord1 offset =  coord1 * StrideD
_v_add_lshl_u32 v17, v17, v4, 0x1                  // global write D address
s_waitcnt lgkmcnt(6)                               // wait for LDS read
_buffer_store_b64 v[36:37], v17, s[sgprSrdD:sgprSrdD+3], 0, offen, offset:0 // store D
_v_add_u32 v17, v6, 10                             // coord1 += nColPerLoad
v_mul_lo_u32 v17, v17, s[sgprStrideD1J]            // coord1 offset =  coord1 * StrideD
_v_add_lshl_u32 v17, v17, v4, 0x1                  // global write D address
s_waitcnt lgkmcnt(5)                               // wait for LDS read
_buffer_store_b64 v[38:39], v17, s[sgprSrdD:sgprSrdD+3], 0, offen, offset:0 // store D
_v_add_u32 v17, v6, 11                             // coord1 += nColPerLoad
	;; [unrolled: 5-line block ×6, first 2 shown]
v_mul_lo_u32 v17, v17, s[sgprStrideD1J]            // coord1 offset =  coord1 * StrideD
_v_add_lshl_u32 v17, v17, v4, 0x1                  // global write D address
s_waitcnt lgkmcnt(0)                               // wait for LDS read
_buffer_store_b64 v[48:49], v17, s[sgprSrdD:sgprSrdD+3], 0, offen, offset:0 // store D

s_barrier //wait all lds read finished
s_nop 0                                            // 1 wait state required when next inst writes vgprs held by previous dwordx4 store inst
s_branch label_GW_End_44                           // jump to end
GW_B1_E1_43:

/* edge=1, allocate 6 sgpr. perBatchTmpS=4 perBatchMaskS=2 perElementMaskS=0 elementsPerBatch=16 */
/* optSingleColVgpr=0 optSharedColVgpr=0 optSGPRUsage=BufferLoad_Edge_Mask optSrdIncForRow=1 */

/******************************************/
/* Global Write Alpha Beta Edge Batch #0 (d1,d0,vc1,vc0) = */
/*    (0,0,0,0:vw4); (0,1,0,0:vw4); (0,2,0,0:vw4); (0,3,0,0:vw4); (0,4,0,0:vw4); (0,5,0,0:vw4); (0,6,0,0:vw4); (0,7,0,0:vw4); (0,8,0,0:vw4); (0,9,0,0:vw4); (0,10,0,0:vw4); (0,11,0,0:vw4); (0,12,0,0:vw4); (0,13,0,0:vw4); (0,14,0,0:vw4); (0,15,0,0:vw4) */
/******************************************/

/* calc coords, apply mask, and issue loads (if necessary) */
/* (d1,vc1,d0,vc0)=(0,0,0,0) */
v_cmp_lt_u32 s[34:35], v0, s[sgprSizeI]            // coord0 < size0
v_cmp_lt_u32 s[38:39], v1, s[sgprSizeJ]            // coord1 < size1
s_and_b64 s[38:39], s[34:35], s[38:39]             // in0 && in1
_v_add_lshl_u32 v9, v2, v0, 0x1                    // scaleToBpe: accumulate d0 lower and *= bpe into Cin addr
v_cndmask_b32 v9, -1, v9, s[38:39]                 // LDC clip if OOB. offset
_buffer_load_b64 v[16:17], v9, s[sgprSrdC:sgprSrdC+3], 0, offen offset:0 // load C for beta calc
_v_add_lshl_u32 v9, v3, v0, 0x1                    // scaleToBpe: accumulate d0 lower and *= bpe into Cin addr
v_cndmask_b32 v9, -1, v9, s[38:39]                 // LDD clip if OOB. offset
/* (d1,vc1,d0,vc0)=(0,0,1,0) */
_v_add_co_u32 v10, vcc, v0, 8                      // coord0.1: coord0 += d0*sg0*VW + vc0
v_cmp_lt_u32 s[34:35], v10, s[sgprSizeI]           // coord0 < size0
v_cmp_lt_u32 s[38:39], v1, s[sgprSizeJ]            // coord1 < size1
s_and_b64 s[38:39], s[34:35], s[38:39]             // in0 && in1
_v_add_lshl_u32 v18, v2, v10, 0x1                  // scaleToBpe: accumulate d0 lower and *= bpe into Cin addr
v_cndmask_b32 v18, -1, v18, s[38:39]               // LDC clip if OOB. offset
_buffer_load_b64 v[24:25], v18, s[sgprSrdC:sgprSrdC+3], 0, offen offset:0 // load C for beta calc
_v_add_lshl_u32 v18, v3, v10, 0x1                  // scaleToBpe: accumulate d0 lower and *= bpe into Cin addr
v_cndmask_b32 v18, -1, v18, s[38:39]               // LDD clip if OOB. offset
/* (d1,vc1,d0,vc0)=(0,0,2,0) */
_v_add_co_u32 v10, vcc, v0, 16                     // coord0.1: coord0 += d0*sg0*VW + vc0
v_cmp_lt_u32 s[34:35], v10, s[sgprSizeI]           // coord0 < size0
v_cmp_lt_u32 s[38:39], v1, s[sgprSizeJ]            // coord1 < size1
s_and_b64 s[38:39], s[34:35], s[38:39]             // in0 && in1
_v_add_lshl_u32 v19, v2, v10, 0x1                  // scaleToBpe: accumulate d0 lower and *= bpe into Cin addr
v_cndmask_b32 v19, -1, v19, s[38:39]               // LDC clip if OOB. offset
_buffer_load_b64 v[26:27], v19, s[sgprSrdC:sgprSrdC+3], 0, offen offset:0 // load C for beta calc
_v_add_lshl_u32 v19, v3, v10, 0x1                  // scaleToBpe: accumulate d0 lower and *= bpe into Cin addr
v_cndmask_b32 v19, -1, v19, s[38:39]               // LDD clip if OOB. offset
/* (d1,vc1,d0,vc0)=(0,0,3,0) */
_v_add_co_u32 v10, vcc, v0, 24                     // coord0.1: coord0 += d0*sg0*VW + vc0
	;; [unrolled: 10-line block ×3, first 2 shown]
v_cmp_lt_u32 s[34:35], v10, s[sgprSizeI]           // coord0 < size0
v_cmp_lt_u32 s[38:39], v1, s[sgprSizeJ]            // coord1 < size1
s_and_b64 s[38:39], s[34:35], s[38:39]             // in0 && in1
_v_add_lshl_u32 v37, v2, v10, 0x1                  // scaleToBpe: accumulate d0 lower and *= bpe into Cin addr
v_cndmask_b32 v37, -1, v37, s[38:39]               // LDC clip if OOB. offset
_buffer_load_b64 v[44:45], v37, s[sgprSrdC:sgprSrdC+3], 0, offen offset:0 // load C for beta calc
_v_add_lshl_u32 v37, v3, v10, 0x1                  // scaleToBpe: accumulate d0 lower and *= bpe into Cin addr
v_cndmask_b32 v37, -1, v37, s[38:39]               // LDD clip if OOB. offset
/* (d1,vc1,d0,vc0)=(0,0,5,0) */
s_mov_b32 s34, 72                                  // coordOffset0 d0=5 vc0=0
_v_add_co_u32 v10, vcc, v0, s34                    // coord0.2: coord0 += d0*sg0*VW + vc0
v_cmp_lt_u32 s[34:35], v10, s[sgprSizeI]           // coord0 < size0
v_cmp_lt_u32 s[38:39], v1, s[sgprSizeJ]            // coord1 < size1
s_and_b64 s[38:39], s[34:35], s[38:39]             // in0 && in1
_v_add_lshl_u32 v46, v2, v10, 0x1                  // scaleToBpe: accumulate d0 lower and *= bpe into Cin addr
v_cndmask_b32 v46, -1, v46, s[38:39]               // LDC clip if OOB. offset
_buffer_load_b64 v[52:53], v46, s[sgprSrdC:sgprSrdC+3], 0, offen offset:0 // load C for beta calc
_v_add_lshl_u32 v46, v3, v10, 0x1                  // scaleToBpe: accumulate d0 lower and *= bpe into Cin addr
v_cndmask_b32 v46, -1, v46, s[38:39]               // LDD clip if OOB. offset
/* (d1,vc1,d0,vc0)=(0,0,6,0) */
s_mov_b32 s34, 80                                  // coordOffset0 d0=6 vc0=0
_v_add_co_u32 v10, vcc, v0, s34                    // coord0.2: coord0 += d0*sg0*VW + vc0
	;; [unrolled: 11-line block ×3, first 2 shown]
v_cmp_lt_u32 s[34:35], v10, s[sgprSizeI]           // coord0 < size0
v_cmp_lt_u32 s[38:39], v1, s[sgprSizeJ]            // coord1 < size1
s_and_b64 s[38:39], s[34:35], s[38:39]             // in0 && in1
_v_add_lshl_u32 v64, v2, v10, 0x1                  // scaleToBpe: accumulate d0 lower and *= bpe into Cin addr
v_cndmask_b32 v64, -1, v64, s[38:39]               // LDC clip if OOB. offset
_buffer_load_b64 v[66:67], v64, s[sgprSrdC:sgprSrdC+3], 0, offen offset:0 // load C for beta calc
_v_add_lshl_u32 v64, v3, v10, 0x1                  // scaleToBpe: accumulate d0 lower and *= bpe into Cin addr
v_cndmask_b32 v64, -1, v64, s[38:39]               // LDD clip if OOB. offset
/* (d1,vc1,d0,vc0)=(0,0,8,0) */
s_mov_b32 s34, 128                                 // coordOffset0 d0=8 vc0=0
_v_add_co_u32 v10, vcc, v0, s34                    // coord0.2: coord0 += d0*sg0*VW + vc0
v_cmp_lt_u32 s[34:35], v10, s[sgprSizeI]           // coord0 < size0
v_cmp_lt_u32 s[38:39], v1, s[sgprSizeJ]            // coord1 < size1
s_and_b64 s[38:39], s[34:35], s[38:39]             // in0 && in1
_v_add_lshl_u32 v65, v2, v10, 0x1                  // scaleToBpe: accumulate d0 lower and *= bpe into Cin addr
v_cndmask_b32 v65, -1, v65, s[38:39]               // LDC clip if OOB. offset
_buffer_load_b64 v[72:73], v65, s[sgprSrdC:sgprSrdC+3], 0, offen offset:0 // load C for beta calc
_v_add_lshl_u32 v65, v3, v10, 0x1                  // scaleToBpe: accumulate d0 lower and *= bpe into Cin addr
v_cndmask_b32 v65, -1, v65, s[38:39]               // LDD clip if OOB. offset
/* (d1,vc1,d0,vc0)=(0,0,9,0) */
s_mov_b32 s34, 136                                 // coordOffset0 d0=9 vc0=0
_v_add_co_u32 v10, vcc, v0, s34                    // coord0.2: coord0 += d0*sg0*VW + vc0
v_cmp_lt_u32 s[34:35], v10, s[sgprSizeI]           // coord0 < size0
v_cmp_lt_u32 s[38:39], v1, s[sgprSizeJ]            // coord1 < size1
s_and_b64 s[38:39], s[34:35], s[38:39]             // in0 && in1
_v_add_lshl_u32 v74, v2, v10, 0x1                  // scaleToBpe: accumulate d0 lower and *= bpe into Cin addr
v_cndmask_b32 v74, -1, v74, s[38:39]               // LDC clip if OOB. offset
_buffer_load_b64 v[80:81], v74, s[sgprSrdC:sgprSrdC+3], 0, offen offset:0 // load C for beta calc
_v_add_lshl_u32 v74, v3, v10, 0x1                  // scaleToBpe: accumulate d0 lower and *= bpe into Cin addr
v_cndmask_b32 v74, -1, v74, s[38:39]               // LDD clip if OOB. offset
/* (d1,vc1,d0,vc0)=(0,0,10,0) */
s_mov_b32 s34, 144                                 // coordOffset0 d0=10 vc0=0
_v_add_co_u32 v10, vcc, v0, s34                    // coord0.2: coord0 += d0*sg0*VW + vc0
v_cmp_lt_u32 s[34:35], v10, s[sgprSizeI]           // coord0 < size0
v_cmp_lt_u32 s[38:39], v1, s[sgprSizeJ]            // coord1 < size1
s_and_b64 s[38:39], s[34:35], s[38:39]             // in0 && in1
_v_add_lshl_u32 v75, v2, v10, 0x1                  // scaleToBpe: accumulate d0 lower and *= bpe into Cin addr
v_cndmask_b32 v75, -1, v75, s[38:39]               // LDC clip if OOB. offset
_buffer_load_b64 v[82:83], v75, s[sgprSrdC:sgprSrdC+3], 0, offen offset:0 // load C for beta calc
_v_add_lshl_u32 v75, v3, v10, 0x1                  // scaleToBpe: accumulate d0 lower and *= bpe into Cin addr
v_cndmask_b32 v75, -1, v75, s[38:39]               // LDD clip if OOB. offset
/* (d1,vc1,d0,vc0)=(0,0,11,0) */
s_mov_b32 s34, 152                                 // coordOffset0 d0=11 vc0=0
_v_add_co_u32 v10, vcc, v0, s34                    // coord0.2: coord0 += d0*sg0*VW + vc0
v_cmp_lt_u32 s[34:35], v10, s[sgprSizeI]           // coord0 < size0
v_cmp_lt_u32 s[38:39], v1, s[sgprSizeJ]            // coord1 < size1
s_and_b64 s[38:39], s[34:35], s[38:39]             // in0 && in1
_v_add_lshl_u32 v92, v2, v10, 0x1                  // scaleToBpe: accumulate d0 lower and *= bpe into Cin addr
v_cndmask_b32 v92, -1, v92, s[38:39]               // LDC clip if OOB. offset
_buffer_load_b64 v[94:95], v92, s[sgprSrdC:sgprSrdC+3], 0, offen offset:0 // load C for beta calc
_v_add_lshl_u32 v92, v3, v10, 0x1                  // scaleToBpe: accumulate d0 lower and *= bpe into Cin addr
v_cndmask_b32 v92, -1, v92, s[38:39]               // LDD clip if OOB. offset
/* (d1,vc1,d0,vc0)=(0,0,12,0) */
s_mov_b32 s34, 192                                 // coordOffset0 d0=12 vc0=0
_v_add_co_u32 v10, vcc, v0, s34                    // coord0.2: coord0 += d0*sg0*VW + vc0
v_cmp_lt_u32 s[34:35], v10, s[sgprSizeI]           // coord0 < size0
v_cmp_lt_u32 s[38:39], v1, s[sgprSizeJ]            // coord1 < size1
s_and_b64 s[38:39], s[34:35], s[38:39]             // in0 && in1
_v_add_lshl_u32 v93, v2, v10, 0x1                  // scaleToBpe: accumulate d0 lower and *= bpe into Cin addr
v_cndmask_b32 v93, -1, v93, s[38:39]               // LDC clip if OOB. offset
_buffer_load_b64 v[100:101], v93, s[sgprSrdC:sgprSrdC+3], 0, offen offset:0 // load C for beta calc
_v_add_lshl_u32 v93, v3, v10, 0x1                  // scaleToBpe: accumulate d0 lower and *= bpe into Cin addr
v_cndmask_b32 v93, -1, v93, s[38:39]               // LDD clip if OOB. offset
/* (d1,vc1,d0,vc0)=(0,0,13,0) */
s_mov_b32 s34, 200                                 // coordOffset0 d0=13 vc0=0
_v_add_co_u32 v10, vcc, v0, s34                    // coord0.2: coord0 += d0*sg0*VW + vc0
v_cmp_lt_u32 s[34:35], v10, s[sgprSizeI]           // coord0 < size0
v_cmp_lt_u32 s[38:39], v1, s[sgprSizeJ]            // coord1 < size1
s_and_b64 s[38:39], s[34:35], s[38:39]             // in0 && in1
_v_add_lshl_u32 v102, v2, v10, 0x1                 // scaleToBpe: accumulate d0 lower and *= bpe into Cin addr
v_cndmask_b32 v102, -1, v102, s[38:39]             // LDC clip if OOB. offset
_buffer_load_b64 v[108:109], v102, s[sgprSrdC:sgprSrdC+3], 0, offen offset:0 // load C for beta calc
_v_add_lshl_u32 v102, v3, v10, 0x1                 // scaleToBpe: accumulate d0 lower and *= bpe into Cin addr
v_cndmask_b32 v102, -1, v102, s[38:39]             // LDD clip if OOB. offset
/* (d1,vc1,d0,vc0)=(0,0,14,0) */
s_mov_b32 s34, 208                                 // coordOffset0 d0=14 vc0=0
_v_add_co_u32 v10, vcc, v0, s34                    // coord0.2: coord0 += d0*sg0*VW + vc0
v_cmp_lt_u32 s[34:35], v10, s[sgprSizeI]           // coord0 < size0
v_cmp_lt_u32 s[38:39], v1, s[sgprSizeJ]            // coord1 < size1
s_and_b64 s[38:39], s[34:35], s[38:39]             // in0 && in1
_v_add_lshl_u32 v103, v2, v10, 0x1                 // scaleToBpe: accumulate d0 lower and *= bpe into Cin addr
v_cndmask_b32 v103, -1, v103, s[38:39]             // LDC clip if OOB. offset
_buffer_load_b64 v[110:111], v103, s[sgprSrdC:sgprSrdC+3], 0, offen offset:0 // load C for beta calc
_v_add_lshl_u32 v103, v3, v10, 0x1                 // scaleToBpe: accumulate d0 lower and *= bpe into Cin addr
v_cndmask_b32 v103, -1, v103, s[38:39]             // LDD clip if OOB. offset
/* (d1,vc1,d0,vc0)=(0,0,15,0) */
s_mov_b32 s34, 216                                 // coordOffset0 d0=15 vc0=0
_v_add_co_u32 v10, vcc, v0, s34                    // coord0.2: coord0 += d0*sg0*VW + vc0
v_cmp_lt_u32 s[34:35], v10, s[sgprSizeI]           // coord0 < size0
v_cmp_lt_u32 s[38:39], v1, s[sgprSizeJ]            // coord1 < size1
s_and_b64 s[38:39], s[34:35], s[38:39]             // in0 && in1
_v_add_lshl_u32 v120, v2, v10, 0x1                 // scaleToBpe: accumulate d0 lower and *= bpe into Cin addr
v_cndmask_b32 v120, -1, v120, s[38:39]             // LDC clip if OOB. offset
_buffer_load_b64 v[122:123], v120, s[sgprSrdC:sgprSrdC+3], 0, offen offset:0 // load C for beta calc
_v_add_lshl_u32 v120, v3, v10, 0x1                 // scaleToBpe: accumulate d0 lower and *= bpe into Cin addr
v_cndmask_b32 v120, -1, v120, s[38:39]             // LDD clip if OOB. offset
v_accvgpr_read_b32 v[vgprValuC+20], acc0 // copy acc to vreg[0]
v_accvgpr_read_b32 v[vgprValuC+21], acc1 // copy acc to vreg[1]
v_accvgpr_read_b32 v[vgprValuC+22], acc2 // copy acc to vreg[2]
v_accvgpr_read_b32 v[vgprValuC+23], acc3 // copy acc to vreg[3]
v_accvgpr_read_b32 v[vgprValuC+28], acc4 // copy acc to vreg[4]
v_accvgpr_read_b32 v[vgprValuC+29], acc5 // copy acc to vreg[5]
v_accvgpr_read_b32 v[vgprValuC+30], acc6 // copy acc to vreg[6]
v_accvgpr_read_b32 v[vgprValuC+31], acc7 // copy acc to vreg[7]
v_accvgpr_read_b32 v[vgprValuC+32], acc8 // copy acc to vreg[8]
v_accvgpr_read_b32 v[vgprValuC+33], acc9 // copy acc to vreg[9]
v_accvgpr_read_b32 v[vgprValuC+34], acc10 // copy acc to vreg[10]
v_accvgpr_read_b32 v[vgprValuC+35], acc11 // copy acc to vreg[11]
v_accvgpr_read_b32 v[vgprValuC+40], acc12 // copy acc to vreg[12]
v_accvgpr_read_b32 v[vgprValuC+41], acc13 // copy acc to vreg[13]
v_accvgpr_read_b32 v[vgprValuC+42], acc14 // copy acc to vreg[14]
v_accvgpr_read_b32 v[vgprValuC+43], acc15 // copy acc to vreg[15]
v_accvgpr_read_b32 v[vgprValuC+48], acc16 // copy acc to vreg[16]
v_accvgpr_read_b32 v[vgprValuC+49], acc17 // copy acc to vreg[17]
v_accvgpr_read_b32 v[vgprValuC+50], acc18 // copy acc to vreg[18]
v_accvgpr_read_b32 v[vgprValuC+51], acc19 // copy acc to vreg[19]
v_accvgpr_read_b32 v[vgprValuC+56], acc20 // copy acc to vreg[20]
v_accvgpr_read_b32 v[vgprValuC+57], acc21 // copy acc to vreg[21]
v_accvgpr_read_b32 v[vgprValuC+58], acc22 // copy acc to vreg[22]
v_accvgpr_read_b32 v[vgprValuC+59], acc23 // copy acc to vreg[23]
v_accvgpr_read_b32 v[vgprValuC+60], acc24 // copy acc to vreg[24]
v_accvgpr_read_b32 v[vgprValuC+61], acc25 // copy acc to vreg[25]
v_accvgpr_read_b32 v[vgprValuC+62], acc26 // copy acc to vreg[26]
v_accvgpr_read_b32 v[vgprValuC+63], acc27 // copy acc to vreg[27]
v_accvgpr_read_b32 v[vgprValuC+68], acc28 // copy acc to vreg[28]
v_accvgpr_read_b32 v[vgprValuC+69], acc29 // copy acc to vreg[29]
v_accvgpr_read_b32 v[vgprValuC+70], acc30 // copy acc to vreg[30]
v_accvgpr_read_b32 v[vgprValuC+71], acc31 // copy acc to vreg[31]
v_accvgpr_read_b32 v[vgprValuC+76], acc32 // copy acc to vreg[32]
v_accvgpr_read_b32 v[vgprValuC+77], acc33 // copy acc to vreg[33]
v_accvgpr_read_b32 v[vgprValuC+78], acc34 // copy acc to vreg[34]
v_accvgpr_read_b32 v[vgprValuC+79], acc35 // copy acc to vreg[35]
v_accvgpr_read_b32 v[vgprValuC+84], acc36 // copy acc to vreg[36]
v_accvgpr_read_b32 v[vgprValuC+85], acc37 // copy acc to vreg[37]
v_accvgpr_read_b32 v[vgprValuC+86], acc38 // copy acc to vreg[38]
v_accvgpr_read_b32 v[vgprValuC+87], acc39 // copy acc to vreg[39]
v_accvgpr_read_b32 v[vgprValuC+88], acc40 // copy acc to vreg[40]
v_accvgpr_read_b32 v[vgprValuC+89], acc41 // copy acc to vreg[41]
v_accvgpr_read_b32 v[vgprValuC+90], acc42 // copy acc to vreg[42]
v_accvgpr_read_b32 v[vgprValuC+91], acc43 // copy acc to vreg[43]
v_accvgpr_read_b32 v[vgprValuC+96], acc44 // copy acc to vreg[44]
v_accvgpr_read_b32 v[vgprValuC+97], acc45 // copy acc to vreg[45]
v_accvgpr_read_b32 v[vgprValuC+98], acc46 // copy acc to vreg[46]
v_accvgpr_read_b32 v[vgprValuC+99], acc47 // copy acc to vreg[47]
v_accvgpr_read_b32 v[vgprValuC+104], acc48 // copy acc to vreg[48]
v_accvgpr_read_b32 v[vgprValuC+105], acc49 // copy acc to vreg[49]
v_accvgpr_read_b32 v[vgprValuC+106], acc50 // copy acc to vreg[50]
v_accvgpr_read_b32 v[vgprValuC+107], acc51 // copy acc to vreg[51]
v_accvgpr_read_b32 v[vgprValuC+112], acc52 // copy acc to vreg[52]
v_accvgpr_read_b32 v[vgprValuC+113], acc53 // copy acc to vreg[53]
v_accvgpr_read_b32 v[vgprValuC+114], acc54 // copy acc to vreg[54]
v_accvgpr_read_b32 v[vgprValuC+115], acc55 // copy acc to vreg[55]
v_accvgpr_read_b32 v[vgprValuC+116], acc56 // copy acc to vreg[56]
v_accvgpr_read_b32 v[vgprValuC+117], acc57 // copy acc to vreg[57]
v_accvgpr_read_b32 v[vgprValuC+118], acc58 // copy acc to vreg[58]
v_accvgpr_read_b32 v[vgprValuC+119], acc59 // copy acc to vreg[59]
v_accvgpr_read_b32 v[vgprValuC+124], acc60 // copy acc to vreg[60]
v_accvgpr_read_b32 v[vgprValuC+125], acc61 // copy acc to vreg[61]
v_accvgpr_read_b32 v[vgprValuC+126], acc62 // copy acc to vreg[62]
v_accvgpr_read_b32 v[vgprValuC+127], acc63 // copy acc to vreg[63]
s_nop 1                                            // 2 wait states required before reading vgpr

/* rC *= alpha batchElements=[(0, 0, 0, 0), (0, 1, 0, 0), (0, 2, 0, 0), (0, 3, 0, 0), (0, 4, 0, 0), (0, 5, 0, 0), (0, 6, 0, 0), (0, 7, 0, 0), (0, 8, 0, 0), (0, 9, 0, 0), (0, 10, 0, 0), (0, 11, 0, 0), (0, 12, 0, 0), (0, 13, 0, 0), (0, 14, 0, 0), (0, 15, 0, 0)] */
v_mul_f32 v[vgprValuC+20], s[sgprAlpha], v[vgprValuC+20] // *= alpha
v_mul_f32 v[vgprValuC+21], s[sgprAlpha], v[vgprValuC+21] // *= alpha
	;; [unrolled: 1-line block ×64, first 2 shown]
s_waitcnt vmcnt(0)                                 // wait C

/* apply mask, calc new C and issue writes */
v_mov_b32 v13, 0xffff0000                          // mask for pack two bfloat16 element to 32bit
v_mov_b32 v14, 0x7fff0000                          // fp32 Nan
v_mov_b32 v15, 0x7fff                              // rounding bias for bfloat16
v_lshlrev_b32 v10, 16, v16                         // convert bf16 to fp32
_v_mac_f32 v[vgprValuC+20], v10, s[sgprBeta]       // finalSum = sum*alpha + C*beta
v_and_b32 v10, v16, v13                            // convert bf16 to fp32
_v_mac_f32 v[vgprValuC+21], v10, s[sgprBeta]       // finalSum = sum*alpha + C*beta
v_lshlrev_b32 v10, 16, v17                         // convert bf16 to fp32
_v_mac_f32 v[vgprValuC+22], v10, s[sgprBeta]       // finalSum = sum*alpha + C*beta
v_and_b32 v10, v17, v13                            // convert bf16 to fp32
_v_mac_f32 v[vgprValuC+23], v10, s[sgprBeta]       // finalSum = sum*alpha + C*beta
v_cmp_u_f32 s[34:35], v[vgprValuC+20], v[vgprValuC+20] // check Nan
v_bfe_u32 v12, v[vgprValuC+20], 16, 1              // Non-Nan case: store lsb of bf16
v_add3_u32 v12, v[vgprValuC+20], v12, v15          // Non-Nan case: add lsb and the increment for rounding
v_cndmask_b32 v[vgprValuC+20], v12, v14, s[34:35]  // 
v_lshrrev_b32 v[vgprValuC+20], 16, v[vgprValuC+20] // convert C to bf16
v_cmp_u_f32 s[34:35], v[vgprValuC+21], v[vgprValuC+21] // check Nan
v_bfe_u32 v12, v[vgprValuC+21], 16, 1              // Non-Nan case: store lsb of bf16
v_add3_u32 v12, v[vgprValuC+21], v12, v15          // Non-Nan case: add lsb and the increment for rounding
v_cndmask_b32 v[vgprValuC+21], v12, v14, s[34:35]  // 
v_and_or_b32 v20, v[vgprValuC+21], v13, v[vgprValuC+20] // pack two bf16 to dword
v_cmp_u_f32 s[34:35], v[vgprValuC+22], v[vgprValuC+22] // check Nan
v_bfe_u32 v12, v[vgprValuC+22], 16, 1              // Non-Nan case: store lsb of bf16
v_add3_u32 v12, v[vgprValuC+22], v12, v15          // Non-Nan case: add lsb and the increment for rounding
v_cndmask_b32 v[vgprValuC+22], v12, v14, s[34:35]  // 
v_lshrrev_b32 v[vgprValuC+22], 16, v[vgprValuC+22] // convert C to bf16
v_cmp_u_f32 s[34:35], v[vgprValuC+23], v[vgprValuC+23] // check Nan
v_bfe_u32 v12, v[vgprValuC+23], 16, 1              // Non-Nan case: store lsb of bf16
v_add3_u32 v12, v[vgprValuC+23], v12, v15          // Non-Nan case: add lsb and the increment for rounding
v_cndmask_b32 v[vgprValuC+23], v12, v14, s[34:35]  // 
v_and_or_b32 v21, v[vgprValuC+23], v13, v[vgprValuC+22] // pack two bf16 to dword
_ds_store_b64 v7, v[20:21], offset:0               // storeRemap lw
v_lshlrev_b32 v10, 16, v24                         // convert bf16 to fp32
_v_mac_f32 v[vgprValuC+28], v10, s[sgprBeta]       // finalSum = sum*alpha + C*beta
v_and_b32 v10, v24, v13                            // convert bf16 to fp32
_v_mac_f32 v[vgprValuC+29], v10, s[sgprBeta]       // finalSum = sum*alpha + C*beta
v_lshlrev_b32 v10, 16, v25                         // convert bf16 to fp32
_v_mac_f32 v[vgprValuC+30], v10, s[sgprBeta]       // finalSum = sum*alpha + C*beta
v_and_b32 v10, v25, v13                            // convert bf16 to fp32
_v_mac_f32 v[vgprValuC+31], v10, s[sgprBeta]       // finalSum = sum*alpha + C*beta
v_cmp_u_f32 s[34:35], v[vgprValuC+28], v[vgprValuC+28] // check Nan
v_bfe_u32 v12, v[vgprValuC+28], 16, 1              // Non-Nan case: store lsb of bf16
v_add3_u32 v12, v[vgprValuC+28], v12, v15          // Non-Nan case: add lsb and the increment for rounding
v_cndmask_b32 v[vgprValuC+28], v12, v14, s[34:35]  // 
v_lshrrev_b32 v[vgprValuC+28], 16, v[vgprValuC+28] // convert C to bf16
v_cmp_u_f32 s[34:35], v[vgprValuC+29], v[vgprValuC+29] // check Nan
v_bfe_u32 v12, v[vgprValuC+29], 16, 1              // Non-Nan case: store lsb of bf16
v_add3_u32 v12, v[vgprValuC+29], v12, v15          // Non-Nan case: add lsb and the increment for rounding
v_cndmask_b32 v[vgprValuC+29], v12, v14, s[34:35]  // 
v_and_or_b32 v28, v[vgprValuC+29], v13, v[vgprValuC+28] // pack two bf16 to dword
v_cmp_u_f32 s[34:35], v[vgprValuC+30], v[vgprValuC+30] // check Nan
v_bfe_u32 v12, v[vgprValuC+30], 16, 1              // Non-Nan case: store lsb of bf16
v_add3_u32 v12, v[vgprValuC+30], v12, v15          // Non-Nan case: add lsb and the increment for rounding
v_cndmask_b32 v[vgprValuC+30], v12, v14, s[34:35]  // 
v_lshrrev_b32 v[vgprValuC+30], 16, v[vgprValuC+30] // convert C to bf16
v_cmp_u_f32 s[34:35], v[vgprValuC+31], v[vgprValuC+31] // check Nan
v_bfe_u32 v12, v[vgprValuC+31], 16, 1              // Non-Nan case: store lsb of bf16
v_add3_u32 v12, v[vgprValuC+31], v12, v15          // Non-Nan case: add lsb and the increment for rounding
v_cndmask_b32 v[vgprValuC+31], v12, v14, s[34:35]  // 
v_and_or_b32 v29, v[vgprValuC+31], v13, v[vgprValuC+30] // pack two bf16 to dword
_ds_store_b64 v7, v[28:29], offset:16              // storeRemap lw
v_lshlrev_b32 v10, 16, v26                         // convert bf16 to fp32
_v_mac_f32 v[vgprValuC+32], v10, s[sgprBeta]       // finalSum = sum*alpha + C*beta
v_and_b32 v10, v26, v13                            // convert bf16 to fp32
_v_mac_f32 v[vgprValuC+33], v10, s[sgprBeta]       // finalSum = sum*alpha + C*beta
v_lshlrev_b32 v10, 16, v27                         // convert bf16 to fp32
_v_mac_f32 v[vgprValuC+34], v10, s[sgprBeta]       // finalSum = sum*alpha + C*beta
v_and_b32 v10, v27, v13                            // convert bf16 to fp32
_v_mac_f32 v[vgprValuC+35], v10, s[sgprBeta]       // finalSum = sum*alpha + C*beta
v_cmp_u_f32 s[34:35], v[vgprValuC+32], v[vgprValuC+32] // check Nan
v_bfe_u32 v12, v[vgprValuC+32], 16, 1              // Non-Nan case: store lsb of bf16
v_add3_u32 v12, v[vgprValuC+32], v12, v15          // Non-Nan case: add lsb and the increment for rounding
v_cndmask_b32 v[vgprValuC+32], v12, v14, s[34:35]  // 
v_lshrrev_b32 v[vgprValuC+32], 16, v[vgprValuC+32] // convert C to bf16
v_cmp_u_f32 s[34:35], v[vgprValuC+33], v[vgprValuC+33] // check Nan
v_bfe_u32 v12, v[vgprValuC+33], 16, 1              // Non-Nan case: store lsb of bf16
v_add3_u32 v12, v[vgprValuC+33], v12, v15          // Non-Nan case: add lsb and the increment for rounding
v_cndmask_b32 v[vgprValuC+33], v12, v14, s[34:35]  // 
v_and_or_b32 v32, v[vgprValuC+33], v13, v[vgprValuC+32] // pack two bf16 to dword
v_cmp_u_f32 s[34:35], v[vgprValuC+34], v[vgprValuC+34] // check Nan
v_bfe_u32 v12, v[vgprValuC+34], 16, 1              // Non-Nan case: store lsb of bf16
v_add3_u32 v12, v[vgprValuC+34], v12, v15          // Non-Nan case: add lsb and the increment for rounding
v_cndmask_b32 v[vgprValuC+34], v12, v14, s[34:35]  // 
v_lshrrev_b32 v[vgprValuC+34], 16, v[vgprValuC+34] // convert C to bf16
v_cmp_u_f32 s[34:35], v[vgprValuC+35], v[vgprValuC+35] // check Nan
v_bfe_u32 v12, v[vgprValuC+35], 16, 1              // Non-Nan case: store lsb of bf16
v_add3_u32 v12, v[vgprValuC+35], v12, v15          // Non-Nan case: add lsb and the increment for rounding
v_cndmask_b32 v[vgprValuC+35], v12, v14, s[34:35]  // 
v_and_or_b32 v33, v[vgprValuC+35], v13, v[vgprValuC+34] // pack two bf16 to dword
_ds_store_b64 v7, v[32:33], offset:32              // storeRemap lw
	;; [unrolled: 29-line block ×3, first 2 shown]
v_lshlrev_b32 v10, 16, v44                         // convert bf16 to fp32
_v_mac_f32 v[vgprValuC+48], v10, s[sgprBeta]       // finalSum = sum*alpha + C*beta
v_and_b32 v10, v44, v13                            // convert bf16 to fp32
_v_mac_f32 v[vgprValuC+49], v10, s[sgprBeta]       // finalSum = sum*alpha + C*beta
v_lshlrev_b32 v10, 16, v45                         // convert bf16 to fp32
_v_mac_f32 v[vgprValuC+50], v10, s[sgprBeta]       // finalSum = sum*alpha + C*beta
v_and_b32 v10, v45, v13                            // convert bf16 to fp32
_v_mac_f32 v[vgprValuC+51], v10, s[sgprBeta]       // finalSum = sum*alpha + C*beta
v_cmp_u_f32 s[34:35], v[vgprValuC+48], v[vgprValuC+48] // check Nan
v_bfe_u32 v12, v[vgprValuC+48], 16, 1              // Non-Nan case: store lsb of bf16
v_add3_u32 v12, v[vgprValuC+48], v12, v15          // Non-Nan case: add lsb and the increment for rounding
v_cndmask_b32 v[vgprValuC+48], v12, v14, s[34:35]  // 
v_lshrrev_b32 v[vgprValuC+48], 16, v[vgprValuC+48] // convert C to bf16
v_cmp_u_f32 s[34:35], v[vgprValuC+49], v[vgprValuC+49] // check Nan
v_bfe_u32 v12, v[vgprValuC+49], 16, 1              // Non-Nan case: store lsb of bf16
v_add3_u32 v12, v[vgprValuC+49], v12, v15          // Non-Nan case: add lsb and the increment for rounding
v_cndmask_b32 v[vgprValuC+49], v12, v14, s[34:35]  // 
v_and_or_b32 v48, v[vgprValuC+49], v13, v[vgprValuC+48] // pack two bf16 to dword
v_cmp_u_f32 s[34:35], v[vgprValuC+50], v[vgprValuC+50] // check Nan
v_bfe_u32 v12, v[vgprValuC+50], 16, 1              // Non-Nan case: store lsb of bf16
v_add3_u32 v12, v[vgprValuC+50], v12, v15          // Non-Nan case: add lsb and the increment for rounding
v_cndmask_b32 v[vgprValuC+50], v12, v14, s[34:35]  // 
v_lshrrev_b32 v[vgprValuC+50], 16, v[vgprValuC+50] // convert C to bf16
v_cmp_u_f32 s[34:35], v[vgprValuC+51], v[vgprValuC+51] // check Nan
v_bfe_u32 v12, v[vgprValuC+51], 16, 1              // Non-Nan case: store lsb of bf16
v_add3_u32 v12, v[vgprValuC+51], v12, v15          // Non-Nan case: add lsb and the increment for rounding
v_cndmask_b32 v[vgprValuC+51], v12, v14, s[34:35]  // 
v_and_or_b32 v49, v[vgprValuC+51], v13, v[vgprValuC+50] // pack two bf16 to dword
_ds_store_b64 v7, v[48:49], offset:128             // storeRemap lw
v_lshlrev_b32 v10, 16, v52                         // convert bf16 to fp32
_v_mac_f32 v[vgprValuC+56], v10, s[sgprBeta]       // finalSum = sum*alpha + C*beta
v_and_b32 v10, v52, v13                            // convert bf16 to fp32
_v_mac_f32 v[vgprValuC+57], v10, s[sgprBeta]       // finalSum = sum*alpha + C*beta
v_lshlrev_b32 v10, 16, v53                         // convert bf16 to fp32
_v_mac_f32 v[vgprValuC+58], v10, s[sgprBeta]       // finalSum = sum*alpha + C*beta
v_and_b32 v10, v53, v13                            // convert bf16 to fp32
_v_mac_f32 v[vgprValuC+59], v10, s[sgprBeta]       // finalSum = sum*alpha + C*beta
v_cmp_u_f32 s[34:35], v[vgprValuC+56], v[vgprValuC+56] // check Nan
v_bfe_u32 v12, v[vgprValuC+56], 16, 1              // Non-Nan case: store lsb of bf16
v_add3_u32 v12, v[vgprValuC+56], v12, v15          // Non-Nan case: add lsb and the increment for rounding
v_cndmask_b32 v[vgprValuC+56], v12, v14, s[34:35]  // 
v_lshrrev_b32 v[vgprValuC+56], 16, v[vgprValuC+56] // convert C to bf16
v_cmp_u_f32 s[34:35], v[vgprValuC+57], v[vgprValuC+57] // check Nan
v_bfe_u32 v12, v[vgprValuC+57], 16, 1              // Non-Nan case: store lsb of bf16
v_add3_u32 v12, v[vgprValuC+57], v12, v15          // Non-Nan case: add lsb and the increment for rounding
v_cndmask_b32 v[vgprValuC+57], v12, v14, s[34:35]  // 
v_and_or_b32 v56, v[vgprValuC+57], v13, v[vgprValuC+56] // pack two bf16 to dword
v_cmp_u_f32 s[34:35], v[vgprValuC+58], v[vgprValuC+58] // check Nan
v_bfe_u32 v12, v[vgprValuC+58], 16, 1              // Non-Nan case: store lsb of bf16
v_add3_u32 v12, v[vgprValuC+58], v12, v15          // Non-Nan case: add lsb and the increment for rounding
v_cndmask_b32 v[vgprValuC+58], v12, v14, s[34:35]  // 
v_lshrrev_b32 v[vgprValuC+58], 16, v[vgprValuC+58] // convert C to bf16
v_cmp_u_f32 s[34:35], v[vgprValuC+59], v[vgprValuC+59] // check Nan
v_bfe_u32 v12, v[vgprValuC+59], 16, 1              // Non-Nan case: store lsb of bf16
v_add3_u32 v12, v[vgprValuC+59], v12, v15          // Non-Nan case: add lsb and the increment for rounding
v_cndmask_b32 v[vgprValuC+59], v12, v14, s[34:35]  // 
v_and_or_b32 v57, v[vgprValuC+59], v13, v[vgprValuC+58] // pack two bf16 to dword
_ds_store_b64 v7, v[56:57], offset:144             // storeRemap lw
v_lshlrev_b32 v10, 16, v54                         // convert bf16 to fp32
_v_mac_f32 v[vgprValuC+60], v10, s[sgprBeta]       // finalSum = sum*alpha + C*beta
v_and_b32 v10, v54, v13                            // convert bf16 to fp32
_v_mac_f32 v[vgprValuC+61], v10, s[sgprBeta]       // finalSum = sum*alpha + C*beta
v_lshlrev_b32 v10, 16, v55                         // convert bf16 to fp32
_v_mac_f32 v[vgprValuC+62], v10, s[sgprBeta]       // finalSum = sum*alpha + C*beta
v_and_b32 v10, v55, v13                            // convert bf16 to fp32
_v_mac_f32 v[vgprValuC+63], v10, s[sgprBeta]       // finalSum = sum*alpha + C*beta
v_cmp_u_f32 s[34:35], v[vgprValuC+60], v[vgprValuC+60] // check Nan
v_bfe_u32 v12, v[vgprValuC+60], 16, 1              // Non-Nan case: store lsb of bf16
v_add3_u32 v12, v[vgprValuC+60], v12, v15          // Non-Nan case: add lsb and the increment for rounding
v_cndmask_b32 v[vgprValuC+60], v12, v14, s[34:35]  // 
v_lshrrev_b32 v[vgprValuC+60], 16, v[vgprValuC+60] // convert C to bf16
v_cmp_u_f32 s[34:35], v[vgprValuC+61], v[vgprValuC+61] // check Nan
v_bfe_u32 v12, v[vgprValuC+61], 16, 1              // Non-Nan case: store lsb of bf16
v_add3_u32 v12, v[vgprValuC+61], v12, v15          // Non-Nan case: add lsb and the increment for rounding
v_cndmask_b32 v[vgprValuC+61], v12, v14, s[34:35]  // 
v_and_or_b32 v60, v[vgprValuC+61], v13, v[vgprValuC+60] // pack two bf16 to dword
v_cmp_u_f32 s[34:35], v[vgprValuC+62], v[vgprValuC+62] // check Nan
v_bfe_u32 v12, v[vgprValuC+62], 16, 1              // Non-Nan case: store lsb of bf16
v_add3_u32 v12, v[vgprValuC+62], v12, v15          // Non-Nan case: add lsb and the increment for rounding
v_cndmask_b32 v[vgprValuC+62], v12, v14, s[34:35]  // 
v_lshrrev_b32 v[vgprValuC+62], 16, v[vgprValuC+62] // convert C to bf16
v_cmp_u_f32 s[34:35], v[vgprValuC+63], v[vgprValuC+63] // check Nan
v_bfe_u32 v12, v[vgprValuC+63], 16, 1              // Non-Nan case: store lsb of bf16
v_add3_u32 v12, v[vgprValuC+63], v12, v15          // Non-Nan case: add lsb and the increment for rounding
v_cndmask_b32 v[vgprValuC+63], v12, v14, s[34:35]  // 
v_and_or_b32 v61, v[vgprValuC+63], v13, v[vgprValuC+62] // pack two bf16 to dword
_ds_store_b64 v7, v[60:61], offset:160             // storeRemap lw
v_lshlrev_b32 v10, 16, v66                         // convert bf16 to fp32
_v_mac_f32 v[vgprValuC+68], v10, s[sgprBeta]       // finalSum = sum*alpha + C*beta
v_and_b32 v10, v66, v13                            // convert bf16 to fp32
_v_mac_f32 v[vgprValuC+69], v10, s[sgprBeta]       // finalSum = sum*alpha + C*beta
v_lshlrev_b32 v10, 16, v67                         // convert bf16 to fp32
_v_mac_f32 v[vgprValuC+70], v10, s[sgprBeta]       // finalSum = sum*alpha + C*beta
v_and_b32 v10, v67, v13                            // convert bf16 to fp32
_v_mac_f32 v[vgprValuC+71], v10, s[sgprBeta]       // finalSum = sum*alpha + C*beta
v_cmp_u_f32 s[34:35], v[vgprValuC+68], v[vgprValuC+68] // check Nan
v_bfe_u32 v12, v[vgprValuC+68], 16, 1              // Non-Nan case: store lsb of bf16
v_add3_u32 v12, v[vgprValuC+68], v12, v15          // Non-Nan case: add lsb and the increment for rounding
v_cndmask_b32 v[vgprValuC+68], v12, v14, s[34:35]  // 
v_lshrrev_b32 v[vgprValuC+68], 16, v[vgprValuC+68] // convert C to bf16
v_cmp_u_f32 s[34:35], v[vgprValuC+69], v[vgprValuC+69] // check Nan
v_bfe_u32 v12, v[vgprValuC+69], 16, 1              // Non-Nan case: store lsb of bf16
v_add3_u32 v12, v[vgprValuC+69], v12, v15          // Non-Nan case: add lsb and the increment for rounding
v_cndmask_b32 v[vgprValuC+69], v12, v14, s[34:35]  // 
v_and_or_b32 v68, v[vgprValuC+69], v13, v[vgprValuC+68] // pack two bf16 to dword
v_cmp_u_f32 s[34:35], v[vgprValuC+70], v[vgprValuC+70] // check Nan
v_bfe_u32 v12, v[vgprValuC+70], 16, 1              // Non-Nan case: store lsb of bf16
v_add3_u32 v12, v[vgprValuC+70], v12, v15          // Non-Nan case: add lsb and the increment for rounding
v_cndmask_b32 v[vgprValuC+70], v12, v14, s[34:35]  // 
v_lshrrev_b32 v[vgprValuC+70], 16, v[vgprValuC+70] // convert C to bf16
v_cmp_u_f32 s[34:35], v[vgprValuC+71], v[vgprValuC+71] // check Nan
v_bfe_u32 v12, v[vgprValuC+71], 16, 1              // Non-Nan case: store lsb of bf16
v_add3_u32 v12, v[vgprValuC+71], v12, v15          // Non-Nan case: add lsb and the increment for rounding
v_cndmask_b32 v[vgprValuC+71], v12, v14, s[34:35]  // 
v_and_or_b32 v69, v[vgprValuC+71], v13, v[vgprValuC+70] // pack two bf16 to dword
_ds_store_b64 v7, v[68:69], offset:176             // storeRemap lw
v_lshlrev_b32 v10, 16, v72                         // convert bf16 to fp32
_v_mac_f32 v[vgprValuC+76], v10, s[sgprBeta]       // finalSum = sum*alpha + C*beta
v_and_b32 v10, v72, v13                            // convert bf16 to fp32
_v_mac_f32 v[vgprValuC+77], v10, s[sgprBeta]       // finalSum = sum*alpha + C*beta
v_lshlrev_b32 v10, 16, v73                         // convert bf16 to fp32
_v_mac_f32 v[vgprValuC+78], v10, s[sgprBeta]       // finalSum = sum*alpha + C*beta
v_and_b32 v10, v73, v13                            // convert bf16 to fp32
_v_mac_f32 v[vgprValuC+79], v10, s[sgprBeta]       // finalSum = sum*alpha + C*beta
v_cmp_u_f32 s[34:35], v[vgprValuC+76], v[vgprValuC+76] // check Nan
v_bfe_u32 v12, v[vgprValuC+76], 16, 1              // Non-Nan case: store lsb of bf16
v_add3_u32 v12, v[vgprValuC+76], v12, v15          // Non-Nan case: add lsb and the increment for rounding
v_cndmask_b32 v[vgprValuC+76], v12, v14, s[34:35]  // 
v_lshrrev_b32 v[vgprValuC+76], 16, v[vgprValuC+76] // convert C to bf16
v_cmp_u_f32 s[34:35], v[vgprValuC+77], v[vgprValuC+77] // check Nan
v_bfe_u32 v12, v[vgprValuC+77], 16, 1              // Non-Nan case: store lsb of bf16
v_add3_u32 v12, v[vgprValuC+77], v12, v15          // Non-Nan case: add lsb and the increment for rounding
v_cndmask_b32 v[vgprValuC+77], v12, v14, s[34:35]  // 
v_and_or_b32 v76, v[vgprValuC+77], v13, v[vgprValuC+76] // pack two bf16 to dword
v_cmp_u_f32 s[34:35], v[vgprValuC+78], v[vgprValuC+78] // check Nan
v_bfe_u32 v12, v[vgprValuC+78], 16, 1              // Non-Nan case: store lsb of bf16
v_add3_u32 v12, v[vgprValuC+78], v12, v15          // Non-Nan case: add lsb and the increment for rounding
v_cndmask_b32 v[vgprValuC+78], v12, v14, s[34:35]  // 
v_lshrrev_b32 v[vgprValuC+78], 16, v[vgprValuC+78] // convert C to bf16
v_cmp_u_f32 s[34:35], v[vgprValuC+79], v[vgprValuC+79] // check Nan
v_bfe_u32 v12, v[vgprValuC+79], 16, 1              // Non-Nan case: store lsb of bf16
v_add3_u32 v12, v[vgprValuC+79], v12, v15          // Non-Nan case: add lsb and the increment for rounding
v_cndmask_b32 v[vgprValuC+79], v12, v14, s[34:35]  // 
v_and_or_b32 v77, v[vgprValuC+79], v13, v[vgprValuC+78] // pack two bf16 to dword
_ds_store_b64 v7, v[76:77], offset:256             // storeRemap lw
v_lshlrev_b32 v10, 16, v80                         // convert bf16 to fp32
_v_mac_f32 v[vgprValuC+84], v10, s[sgprBeta]       // finalSum = sum*alpha + C*beta
v_and_b32 v10, v80, v13                            // convert bf16 to fp32
_v_mac_f32 v[vgprValuC+85], v10, s[sgprBeta]       // finalSum = sum*alpha + C*beta
v_lshlrev_b32 v10, 16, v81                         // convert bf16 to fp32
_v_mac_f32 v[vgprValuC+86], v10, s[sgprBeta]       // finalSum = sum*alpha + C*beta
v_and_b32 v10, v81, v13                            // convert bf16 to fp32
_v_mac_f32 v[vgprValuC+87], v10, s[sgprBeta]       // finalSum = sum*alpha + C*beta
v_cmp_u_f32 s[34:35], v[vgprValuC+84], v[vgprValuC+84] // check Nan
v_bfe_u32 v12, v[vgprValuC+84], 16, 1              // Non-Nan case: store lsb of bf16
v_add3_u32 v12, v[vgprValuC+84], v12, v15          // Non-Nan case: add lsb and the increment for rounding
v_cndmask_b32 v[vgprValuC+84], v12, v14, s[34:35]  // 
v_lshrrev_b32 v[vgprValuC+84], 16, v[vgprValuC+84] // convert C to bf16
v_cmp_u_f32 s[34:35], v[vgprValuC+85], v[vgprValuC+85] // check Nan
v_bfe_u32 v12, v[vgprValuC+85], 16, 1              // Non-Nan case: store lsb of bf16
v_add3_u32 v12, v[vgprValuC+85], v12, v15          // Non-Nan case: add lsb and the increment for rounding
v_cndmask_b32 v[vgprValuC+85], v12, v14, s[34:35]  // 
v_and_or_b32 v84, v[vgprValuC+85], v13, v[vgprValuC+84] // pack two bf16 to dword
v_cmp_u_f32 s[34:35], v[vgprValuC+86], v[vgprValuC+86] // check Nan
v_bfe_u32 v12, v[vgprValuC+86], 16, 1              // Non-Nan case: store lsb of bf16
v_add3_u32 v12, v[vgprValuC+86], v12, v15          // Non-Nan case: add lsb and the increment for rounding
v_cndmask_b32 v[vgprValuC+86], v12, v14, s[34:35]  // 
v_lshrrev_b32 v[vgprValuC+86], 16, v[vgprValuC+86] // convert C to bf16
v_cmp_u_f32 s[34:35], v[vgprValuC+87], v[vgprValuC+87] // check Nan
v_bfe_u32 v12, v[vgprValuC+87], 16, 1              // Non-Nan case: store lsb of bf16
v_add3_u32 v12, v[vgprValuC+87], v12, v15          // Non-Nan case: add lsb and the increment for rounding
v_cndmask_b32 v[vgprValuC+87], v12, v14, s[34:35]  // 
v_and_or_b32 v85, v[vgprValuC+87], v13, v[vgprValuC+86] // pack two bf16 to dword
_ds_store_b64 v7, v[84:85], offset:272             // storeRemap lw
v_lshlrev_b32 v10, 16, v82                         // convert bf16 to fp32
_v_mac_f32 v[vgprValuC+88], v10, s[sgprBeta]       // finalSum = sum*alpha + C*beta
v_and_b32 v10, v82, v13                            // convert bf16 to fp32
_v_mac_f32 v[vgprValuC+89], v10, s[sgprBeta]       // finalSum = sum*alpha + C*beta
v_lshlrev_b32 v10, 16, v83                         // convert bf16 to fp32
_v_mac_f32 v[vgprValuC+90], v10, s[sgprBeta]       // finalSum = sum*alpha + C*beta
v_and_b32 v10, v83, v13                            // convert bf16 to fp32
_v_mac_f32 v[vgprValuC+91], v10, s[sgprBeta]       // finalSum = sum*alpha + C*beta
v_cmp_u_f32 s[34:35], v[vgprValuC+88], v[vgprValuC+88] // check Nan
v_bfe_u32 v12, v[vgprValuC+88], 16, 1              // Non-Nan case: store lsb of bf16
v_add3_u32 v12, v[vgprValuC+88], v12, v15          // Non-Nan case: add lsb and the increment for rounding
v_cndmask_b32 v[vgprValuC+88], v12, v14, s[34:35]  // 
v_lshrrev_b32 v[vgprValuC+88], 16, v[vgprValuC+88] // convert C to bf16
v_cmp_u_f32 s[34:35], v[vgprValuC+89], v[vgprValuC+89] // check Nan
v_bfe_u32 v12, v[vgprValuC+89], 16, 1              // Non-Nan case: store lsb of bf16
v_add3_u32 v12, v[vgprValuC+89], v12, v15          // Non-Nan case: add lsb and the increment for rounding
v_cndmask_b32 v[vgprValuC+89], v12, v14, s[34:35]  // 
v_and_or_b32 v88, v[vgprValuC+89], v13, v[vgprValuC+88] // pack two bf16 to dword
v_cmp_u_f32 s[34:35], v[vgprValuC+90], v[vgprValuC+90] // check Nan
v_bfe_u32 v12, v[vgprValuC+90], 16, 1              // Non-Nan case: store lsb of bf16
v_add3_u32 v12, v[vgprValuC+90], v12, v15          // Non-Nan case: add lsb and the increment for rounding
v_cndmask_b32 v[vgprValuC+90], v12, v14, s[34:35]  // 
v_lshrrev_b32 v[vgprValuC+90], 16, v[vgprValuC+90] // convert C to bf16
v_cmp_u_f32 s[34:35], v[vgprValuC+91], v[vgprValuC+91] // check Nan
v_bfe_u32 v12, v[vgprValuC+91], 16, 1              // Non-Nan case: store lsb of bf16
v_add3_u32 v12, v[vgprValuC+91], v12, v15          // Non-Nan case: add lsb and the increment for rounding
v_cndmask_b32 v[vgprValuC+91], v12, v14, s[34:35]  // 
v_and_or_b32 v89, v[vgprValuC+91], v13, v[vgprValuC+90] // pack two bf16 to dword
_ds_store_b64 v7, v[88:89], offset:288             // storeRemap lw
v_lshlrev_b32 v10, 16, v94                         // convert bf16 to fp32
_v_mac_f32 v[vgprValuC+96], v10, s[sgprBeta]       // finalSum = sum*alpha + C*beta
v_and_b32 v10, v94, v13                            // convert bf16 to fp32
_v_mac_f32 v[vgprValuC+97], v10, s[sgprBeta]       // finalSum = sum*alpha + C*beta
v_lshlrev_b32 v10, 16, v95                         // convert bf16 to fp32
_v_mac_f32 v[vgprValuC+98], v10, s[sgprBeta]       // finalSum = sum*alpha + C*beta
v_and_b32 v10, v95, v13                            // convert bf16 to fp32
_v_mac_f32 v[vgprValuC+99], v10, s[sgprBeta]       // finalSum = sum*alpha + C*beta
v_cmp_u_f32 s[34:35], v[vgprValuC+96], v[vgprValuC+96] // check Nan
v_bfe_u32 v12, v[vgprValuC+96], 16, 1              // Non-Nan case: store lsb of bf16
v_add3_u32 v12, v[vgprValuC+96], v12, v15          // Non-Nan case: add lsb and the increment for rounding
v_cndmask_b32 v[vgprValuC+96], v12, v14, s[34:35]  // 
v_lshrrev_b32 v[vgprValuC+96], 16, v[vgprValuC+96] // convert C to bf16
v_cmp_u_f32 s[34:35], v[vgprValuC+97], v[vgprValuC+97] // check Nan
v_bfe_u32 v12, v[vgprValuC+97], 16, 1              // Non-Nan case: store lsb of bf16
v_add3_u32 v12, v[vgprValuC+97], v12, v15          // Non-Nan case: add lsb and the increment for rounding
v_cndmask_b32 v[vgprValuC+97], v12, v14, s[34:35]  // 
v_and_or_b32 v96, v[vgprValuC+97], v13, v[vgprValuC+96] // pack two bf16 to dword
v_cmp_u_f32 s[34:35], v[vgprValuC+98], v[vgprValuC+98] // check Nan
v_bfe_u32 v12, v[vgprValuC+98], 16, 1              // Non-Nan case: store lsb of bf16
v_add3_u32 v12, v[vgprValuC+98], v12, v15          // Non-Nan case: add lsb and the increment for rounding
v_cndmask_b32 v[vgprValuC+98], v12, v14, s[34:35]  // 
v_lshrrev_b32 v[vgprValuC+98], 16, v[vgprValuC+98] // convert C to bf16
v_cmp_u_f32 s[34:35], v[vgprValuC+99], v[vgprValuC+99] // check Nan
v_bfe_u32 v12, v[vgprValuC+99], 16, 1              // Non-Nan case: store lsb of bf16
v_add3_u32 v12, v[vgprValuC+99], v12, v15          // Non-Nan case: add lsb and the increment for rounding
v_cndmask_b32 v[vgprValuC+99], v12, v14, s[34:35]  // 
v_and_or_b32 v97, v[vgprValuC+99], v13, v[vgprValuC+98] // pack two bf16 to dword
_ds_store_b64 v7, v[96:97], offset:304             // storeRemap lw
v_lshlrev_b32 v10, 16, v100                        // convert bf16 to fp32
_v_mac_f32 v[vgprValuC+104], v10, s[sgprBeta]      // finalSum = sum*alpha + C*beta
v_and_b32 v10, v100, v13                           // convert bf16 to fp32
_v_mac_f32 v[vgprValuC+105], v10, s[sgprBeta]      // finalSum = sum*alpha + C*beta
v_lshlrev_b32 v10, 16, v101                        // convert bf16 to fp32
_v_mac_f32 v[vgprValuC+106], v10, s[sgprBeta]      // finalSum = sum*alpha + C*beta
v_and_b32 v10, v101, v13                           // convert bf16 to fp32
_v_mac_f32 v[vgprValuC+107], v10, s[sgprBeta]      // finalSum = sum*alpha + C*beta
v_cmp_u_f32 s[34:35], v[vgprValuC+104], v[vgprValuC+104] // check Nan
v_bfe_u32 v12, v[vgprValuC+104], 16, 1             // Non-Nan case: store lsb of bf16
v_add3_u32 v12, v[vgprValuC+104], v12, v15         // Non-Nan case: add lsb and the increment for rounding
v_cndmask_b32 v[vgprValuC+104], v12, v14, s[34:35] // 
v_lshrrev_b32 v[vgprValuC+104], 16, v[vgprValuC+104] // convert C to bf16
v_cmp_u_f32 s[34:35], v[vgprValuC+105], v[vgprValuC+105] // check Nan
v_bfe_u32 v12, v[vgprValuC+105], 16, 1             // Non-Nan case: store lsb of bf16
v_add3_u32 v12, v[vgprValuC+105], v12, v15         // Non-Nan case: add lsb and the increment for rounding
v_cndmask_b32 v[vgprValuC+105], v12, v14, s[34:35] // 
v_and_or_b32 v104, v[vgprValuC+105], v13, v[vgprValuC+104] // pack two bf16 to dword
v_cmp_u_f32 s[34:35], v[vgprValuC+106], v[vgprValuC+106] // check Nan
v_bfe_u32 v12, v[vgprValuC+106], 16, 1             // Non-Nan case: store lsb of bf16
v_add3_u32 v12, v[vgprValuC+106], v12, v15         // Non-Nan case: add lsb and the increment for rounding
v_cndmask_b32 v[vgprValuC+106], v12, v14, s[34:35] // 
v_lshrrev_b32 v[vgprValuC+106], 16, v[vgprValuC+106] // convert C to bf16
v_cmp_u_f32 s[34:35], v[vgprValuC+107], v[vgprValuC+107] // check Nan
v_bfe_u32 v12, v[vgprValuC+107], 16, 1             // Non-Nan case: store lsb of bf16
v_add3_u32 v12, v[vgprValuC+107], v12, v15         // Non-Nan case: add lsb and the increment for rounding
v_cndmask_b32 v[vgprValuC+107], v12, v14, s[34:35] // 
v_and_or_b32 v105, v[vgprValuC+107], v13, v[vgprValuC+106] // pack two bf16 to dword
_ds_store_b64 v7, v[104:105], offset:384           // storeRemap lw
v_lshlrev_b32 v10, 16, v108                        // convert bf16 to fp32
_v_mac_f32 v[vgprValuC+112], v10, s[sgprBeta]      // finalSum = sum*alpha + C*beta
v_and_b32 v10, v108, v13                           // convert bf16 to fp32
_v_mac_f32 v[vgprValuC+113], v10, s[sgprBeta]      // finalSum = sum*alpha + C*beta
v_lshlrev_b32 v10, 16, v109                        // convert bf16 to fp32
_v_mac_f32 v[vgprValuC+114], v10, s[sgprBeta]      // finalSum = sum*alpha + C*beta
v_and_b32 v10, v109, v13                           // convert bf16 to fp32
_v_mac_f32 v[vgprValuC+115], v10, s[sgprBeta]      // finalSum = sum*alpha + C*beta
v_cmp_u_f32 s[34:35], v[vgprValuC+112], v[vgprValuC+112] // check Nan
v_bfe_u32 v12, v[vgprValuC+112], 16, 1             // Non-Nan case: store lsb of bf16
v_add3_u32 v12, v[vgprValuC+112], v12, v15         // Non-Nan case: add lsb and the increment for rounding
v_cndmask_b32 v[vgprValuC+112], v12, v14, s[34:35] // 
v_lshrrev_b32 v[vgprValuC+112], 16, v[vgprValuC+112] // convert C to bf16
v_cmp_u_f32 s[34:35], v[vgprValuC+113], v[vgprValuC+113] // check Nan
v_bfe_u32 v12, v[vgprValuC+113], 16, 1             // Non-Nan case: store lsb of bf16
v_add3_u32 v12, v[vgprValuC+113], v12, v15         // Non-Nan case: add lsb and the increment for rounding
v_cndmask_b32 v[vgprValuC+113], v12, v14, s[34:35] // 
v_and_or_b32 v112, v[vgprValuC+113], v13, v[vgprValuC+112] // pack two bf16 to dword
v_cmp_u_f32 s[34:35], v[vgprValuC+114], v[vgprValuC+114] // check Nan
v_bfe_u32 v12, v[vgprValuC+114], 16, 1             // Non-Nan case: store lsb of bf16
v_add3_u32 v12, v[vgprValuC+114], v12, v15         // Non-Nan case: add lsb and the increment for rounding
v_cndmask_b32 v[vgprValuC+114], v12, v14, s[34:35] // 
v_lshrrev_b32 v[vgprValuC+114], 16, v[vgprValuC+114] // convert C to bf16
v_cmp_u_f32 s[34:35], v[vgprValuC+115], v[vgprValuC+115] // check Nan
v_bfe_u32 v12, v[vgprValuC+115], 16, 1             // Non-Nan case: store lsb of bf16
v_add3_u32 v12, v[vgprValuC+115], v12, v15         // Non-Nan case: add lsb and the increment for rounding
v_cndmask_b32 v[vgprValuC+115], v12, v14, s[34:35] // 
v_and_or_b32 v113, v[vgprValuC+115], v13, v[vgprValuC+114] // pack two bf16 to dword
_ds_store_b64 v7, v[112:113], offset:400           // storeRemap lw
	;; [unrolled: 29-line block ×4, first 2 shown]

/* Handle local read and global write */
s_waitcnt lgkmcnt(0)                               // wait for LDS write
s_barrier //wait all lds write finished

_ds_load_b64 v[16:17], v8, offset:0                // storeRemap lr
_ds_load_b64 v[18:19], v8, offset:520              // storeRemap lr
_ds_load_b64 v[20:21], v8, offset:1040             // storeRemap lr
_ds_load_b64 v[22:23], v8, offset:1560             // storeRemap lr
_ds_load_b64 v[24:25], v8, offset:2080             // storeRemap lr
_ds_load_b64 v[26:27], v8, offset:2600             // storeRemap lr
_ds_load_b64 v[28:29], v8, offset:3120             // storeRemap lr
_ds_load_b64 v[30:31], v8, offset:3640             // storeRemap lr
_ds_load_b64 v[32:33], v8, offset:4160             // storeRemap lr
_ds_load_b64 v[34:35], v8, offset:4680             // storeRemap lr
_ds_load_b64 v[36:37], v8, offset:5200             // storeRemap lr
_ds_load_b64 v[38:39], v8, offset:5720             // storeRemap lr
_ds_load_b64 v[40:41], v8, offset:6240             // storeRemap lr
_ds_load_b64 v[42:43], v8, offset:6760             // storeRemap lr
_ds_load_b64 v[44:45], v8, offset:7280             // storeRemap lr
_ds_load_b64 v[46:47], v8, offset:7800             // storeRemap lr

s_waitcnt lgkmcnt(15)                              // wait for LDS read
_v_add_u32 v11, v5, 0                              // coord1 += nColPerLoad
_v_add_u32 v10, v4, 0                              // coord0 += element index of load vector
_v_add_u32 v9, v6, 0                               // offset coord1 += nColPerLoad
v_cmp_lt_u32 s[34:35], v10, s[sgprSizeI]           // coord0 < size0
v_cmp_lt_u32 s[36:37], v11, s[sgprSizeJ]           // coord1 < size1
s_and_b64 s[36:37], s[34:35], s[36:37]             // in0 && in1
v_mul_lo_u32 v9, v9, s[sgprStrideD1J]              // coord1 element offset =  coord1 * StrideD
_v_add_lshl_u32 v9, v9, v10, 0x1                   // scale to BPE
v_cndmask_b32 v9, -1, v9, s[36:37]                 // clip if OOB. offset
_buffer_store_b64 v[16:17], v9, s[sgprSrdD:sgprSrdD+3], 0, offen, offset:0 // store D
s_waitcnt lgkmcnt(14)                              // wait for LDS read
_v_add_u32 v11, v5, 1                              // coord1 += nColPerLoad
_v_add_u32 v10, v4, 0                              // coord0 += element index of load vector
_v_add_u32 v9, v6, 1                               // offset coord1 += nColPerLoad
v_cmp_lt_u32 s[34:35], v10, s[sgprSizeI]           // coord0 < size0
v_cmp_lt_u32 s[36:37], v11, s[sgprSizeJ]           // coord1 < size1
s_and_b64 s[36:37], s[34:35], s[36:37]             // in0 && in1
v_mul_lo_u32 v9, v9, s[sgprStrideD1J]              // coord1 element offset =  coord1 * StrideD
_v_add_lshl_u32 v9, v9, v10, 0x1                   // scale to BPE
v_cndmask_b32 v9, -1, v9, s[36:37]                 // clip if OOB. offset
_buffer_store_b64 v[18:19], v9, s[sgprSrdD:sgprSrdD+3], 0, offen, offset:0 // store D
	;; [unrolled: 11-line block ×6, first 2 shown]
s_waitcnt lgkmcnt(9)                               // wait for LDS read
_v_add_u32 v11, v5, 6                              // coord1 += nColPerLoad
_v_add_u32 v10, v4, 0                              // coord0 += element index of load vector
_v_add_u32 v9, v6, 6                               // offset coord1 += nColPerLoad
v_cmp_lt_u32 s[34:35], v10, s[sgprSizeI]           // coord0 < size0
v_cmp_lt_u32 s[36:37], v11, s[sgprSizeJ]           // coord1 < size1
s_and_b64 s[36:37], s[34:35], s[36:37]             // in0 && in1
v_mul_lo_u32 v9, v9, s[sgprStrideD1J]              // coord1 element offset =  coord1 * StrideD
_v_add_lshl_u32 v9, v9, v10, 0x1                   // scale to BPE
v_cndmask_b32 v9, -1, v9, s[36:37]                 // clip if OOB. offset
_buffer_store_b64 v[28:29], v9, s[sgprSrdD:sgprSrdD+3], 0, offen, offset:0 // store D
s_waitcnt lgkmcnt(8)                               // wait for LDS read
_v_add_u32 v11, v5, 7                              // coord1 += nColPerLoad
_v_add_u32 v10, v4, 0                              // coord0 += element index of load vector
_v_add_u32 v9, v6, 7                               // offset coord1 += nColPerLoad
v_cmp_lt_u32 s[34:35], v10, s[sgprSizeI]           // coord0 < size0
v_cmp_lt_u32 s[36:37], v11, s[sgprSizeJ]           // coord1 < size1
s_and_b64 s[36:37], s[34:35], s[36:37]             // in0 && in1
v_mul_lo_u32 v9, v9, s[sgprStrideD1J]              // coord1 element offset =  coord1 * StrideD
_v_add_lshl_u32 v9, v9, v10, 0x1                   // scale to BPE
v_cndmask_b32 v9, -1, v9, s[36:37]                 // clip if OOB. offset
_buffer_store_b64 v[30:31], v9, s[sgprSrdD:sgprSrdD+3], 0, offen, offset:0 // store D
	;; [unrolled: 11-line block ×4, first 2 shown]
s_waitcnt lgkmcnt(5)                               // wait for LDS read
_v_add_u32 v11, v5, 10                             // coord1 += nColPerLoad
_v_add_u32 v10, v4, 0                              // coord0 += element index of load vector
_v_add_u32 v9, v6, 10                              // offset coord1 += nColPerLoad
v_cmp_lt_u32 s[34:35], v10, s[sgprSizeI]           // coord0 < size0
v_cmp_lt_u32 s[36:37], v11, s[sgprSizeJ]           // coord1 < size1
s_and_b64 s[36:37], s[34:35], s[36:37]             // in0 && in1
v_mul_lo_u32 v9, v9, s[sgprStrideD1J]              // coord1 element offset =  coord1 * StrideD
_v_add_lshl_u32 v9, v9, v10, 0x1                   // scale to BPE
v_cndmask_b32 v9, -1, v9, s[36:37]                 // clip if OOB. offset
_buffer_store_b64 v[36:37], v9, s[sgprSrdD:sgprSrdD+3], 0, offen, offset:0 // store D
s_waitcnt lgkmcnt(4)                               // wait for LDS read
_v_add_u32 v11, v5, 11                             // coord1 += nColPerLoad
_v_add_u32 v10, v4, 0                              // coord0 += element index of load vector
_v_add_u32 v9, v6, 11                              // offset coord1 += nColPerLoad
v_cmp_lt_u32 s[34:35], v10, s[sgprSizeI]           // coord0 < size0
v_cmp_lt_u32 s[36:37], v11, s[sgprSizeJ]           // coord1 < size1
s_and_b64 s[36:37], s[34:35], s[36:37]             // in0 && in1
v_mul_lo_u32 v9, v9, s[sgprStrideD1J]              // coord1 element offset =  coord1 * StrideD
_v_add_lshl_u32 v9, v9, v10, 0x1                   // scale to BPE
v_cndmask_b32 v9, -1, v9, s[36:37]                 // clip if OOB. offset
_buffer_store_b64 v[38:39], v9, s[sgprSrdD:sgprSrdD+3], 0, offen, offset:0 // store D
	;; [unrolled: 11-line block ×6, first 2 shown]

s_barrier //wait all lds read finished
s_nop 0                                            // 1 wait state required when next inst writes vgprs held by previous dwordx4 store inst
s_branch label_GW_End_44                           // jump to end
label_GW_End_44:

label_0049:  /// KernelEnd
s_endpgm                                           // Kernel End

